;; amdgpu-corpus repo=ROCm/rocFFT kind=compiled arch=gfx1030 opt=O3
	.text
	.amdgcn_target "amdgcn-amd-amdhsa--gfx1030"
	.amdhsa_code_object_version 6
	.protected	fft_rtc_fwd_len918_factors_17_9_2_3_wgs_102_tpt_102_halfLds_dp_ip_CI_unitstride_sbrr_C2R_dirReg ; -- Begin function fft_rtc_fwd_len918_factors_17_9_2_3_wgs_102_tpt_102_halfLds_dp_ip_CI_unitstride_sbrr_C2R_dirReg
	.globl	fft_rtc_fwd_len918_factors_17_9_2_3_wgs_102_tpt_102_halfLds_dp_ip_CI_unitstride_sbrr_C2R_dirReg
	.p2align	8
	.type	fft_rtc_fwd_len918_factors_17_9_2_3_wgs_102_tpt_102_halfLds_dp_ip_CI_unitstride_sbrr_C2R_dirReg,@function
fft_rtc_fwd_len918_factors_17_9_2_3_wgs_102_tpt_102_halfLds_dp_ip_CI_unitstride_sbrr_C2R_dirReg: ; @fft_rtc_fwd_len918_factors_17_9_2_3_wgs_102_tpt_102_halfLds_dp_ip_CI_unitstride_sbrr_C2R_dirReg
; %bb.0:
	s_clause 0x2
	s_load_dwordx4 s[8:11], s[4:5], 0x0
	s_load_dwordx2 s[2:3], s[4:5], 0x50
	s_load_dwordx2 s[12:13], s[4:5], 0x18
	v_mul_u32_u24_e32 v1, 0x283, v0
	v_mov_b32_e32 v3, 0
	v_add_nc_u32_sdwa v5, s6, v1 dst_sel:DWORD dst_unused:UNUSED_PAD src0_sel:DWORD src1_sel:WORD_1
	v_mov_b32_e32 v1, 0
	v_mov_b32_e32 v6, v3
	v_mov_b32_e32 v2, 0
	s_waitcnt lgkmcnt(0)
	v_cmp_lt_u64_e64 s0, s[10:11], 2
	s_and_b32 vcc_lo, exec_lo, s0
	s_cbranch_vccnz .LBB0_8
; %bb.1:
	s_load_dwordx2 s[0:1], s[4:5], 0x10
	v_mov_b32_e32 v1, 0
	s_add_u32 s6, s12, 8
	v_mov_b32_e32 v2, 0
	s_addc_u32 s7, s13, 0
	s_mov_b64 s[16:17], 1
	s_waitcnt lgkmcnt(0)
	s_add_u32 s14, s0, 8
	s_addc_u32 s15, s1, 0
.LBB0_2:                                ; =>This Inner Loop Header: Depth=1
	s_load_dwordx2 s[18:19], s[14:15], 0x0
                                        ; implicit-def: $vgpr7_vgpr8
	s_mov_b32 s0, exec_lo
	s_waitcnt lgkmcnt(0)
	v_or_b32_e32 v4, s19, v6
	v_cmpx_ne_u64_e32 0, v[3:4]
	s_xor_b32 s1, exec_lo, s0
	s_cbranch_execz .LBB0_4
; %bb.3:                                ;   in Loop: Header=BB0_2 Depth=1
	v_cvt_f32_u32_e32 v4, s18
	v_cvt_f32_u32_e32 v7, s19
	s_sub_u32 s0, 0, s18
	s_subb_u32 s20, 0, s19
	v_fmac_f32_e32 v4, 0x4f800000, v7
	v_rcp_f32_e32 v4, v4
	v_mul_f32_e32 v4, 0x5f7ffffc, v4
	v_mul_f32_e32 v7, 0x2f800000, v4
	v_trunc_f32_e32 v7, v7
	v_fmac_f32_e32 v4, 0xcf800000, v7
	v_cvt_u32_f32_e32 v7, v7
	v_cvt_u32_f32_e32 v4, v4
	v_mul_lo_u32 v8, s0, v7
	v_mul_hi_u32 v9, s0, v4
	v_mul_lo_u32 v10, s20, v4
	v_add_nc_u32_e32 v8, v9, v8
	v_mul_lo_u32 v9, s0, v4
	v_add_nc_u32_e32 v8, v8, v10
	v_mul_hi_u32 v10, v4, v9
	v_mul_lo_u32 v11, v4, v8
	v_mul_hi_u32 v12, v4, v8
	v_mul_hi_u32 v13, v7, v9
	v_mul_lo_u32 v9, v7, v9
	v_mul_hi_u32 v14, v7, v8
	v_mul_lo_u32 v8, v7, v8
	v_add_co_u32 v10, vcc_lo, v10, v11
	v_add_co_ci_u32_e32 v11, vcc_lo, 0, v12, vcc_lo
	v_add_co_u32 v9, vcc_lo, v10, v9
	v_add_co_ci_u32_e32 v9, vcc_lo, v11, v13, vcc_lo
	v_add_co_ci_u32_e32 v10, vcc_lo, 0, v14, vcc_lo
	v_add_co_u32 v8, vcc_lo, v9, v8
	v_add_co_ci_u32_e32 v9, vcc_lo, 0, v10, vcc_lo
	v_add_co_u32 v4, vcc_lo, v4, v8
	v_add_co_ci_u32_e32 v7, vcc_lo, v7, v9, vcc_lo
	v_mul_hi_u32 v8, s0, v4
	v_mul_lo_u32 v10, s20, v4
	v_mul_lo_u32 v9, s0, v7
	v_add_nc_u32_e32 v8, v8, v9
	v_mul_lo_u32 v9, s0, v4
	v_add_nc_u32_e32 v8, v8, v10
	v_mul_hi_u32 v10, v4, v9
	v_mul_lo_u32 v11, v4, v8
	v_mul_hi_u32 v12, v4, v8
	v_mul_hi_u32 v13, v7, v9
	v_mul_lo_u32 v9, v7, v9
	v_mul_hi_u32 v14, v7, v8
	v_mul_lo_u32 v8, v7, v8
	v_add_co_u32 v10, vcc_lo, v10, v11
	v_add_co_ci_u32_e32 v11, vcc_lo, 0, v12, vcc_lo
	v_add_co_u32 v9, vcc_lo, v10, v9
	v_add_co_ci_u32_e32 v9, vcc_lo, v11, v13, vcc_lo
	v_add_co_ci_u32_e32 v10, vcc_lo, 0, v14, vcc_lo
	v_add_co_u32 v8, vcc_lo, v9, v8
	v_add_co_ci_u32_e32 v9, vcc_lo, 0, v10, vcc_lo
	v_add_co_u32 v4, vcc_lo, v4, v8
	v_add_co_ci_u32_e32 v11, vcc_lo, v7, v9, vcc_lo
	v_mul_hi_u32 v13, v5, v4
	v_mad_u64_u32 v[9:10], null, v6, v4, 0
	v_mad_u64_u32 v[7:8], null, v5, v11, 0
	;; [unrolled: 1-line block ×3, first 2 shown]
	v_add_co_u32 v4, vcc_lo, v13, v7
	v_add_co_ci_u32_e32 v7, vcc_lo, 0, v8, vcc_lo
	v_add_co_u32 v4, vcc_lo, v4, v9
	v_add_co_ci_u32_e32 v4, vcc_lo, v7, v10, vcc_lo
	v_add_co_ci_u32_e32 v7, vcc_lo, 0, v12, vcc_lo
	v_add_co_u32 v4, vcc_lo, v4, v11
	v_add_co_ci_u32_e32 v9, vcc_lo, 0, v7, vcc_lo
	v_mul_lo_u32 v10, s19, v4
	v_mad_u64_u32 v[7:8], null, s18, v4, 0
	v_mul_lo_u32 v11, s18, v9
	v_sub_co_u32 v7, vcc_lo, v5, v7
	v_add3_u32 v8, v8, v11, v10
	v_sub_nc_u32_e32 v10, v6, v8
	v_subrev_co_ci_u32_e64 v10, s0, s19, v10, vcc_lo
	v_add_co_u32 v11, s0, v4, 2
	v_add_co_ci_u32_e64 v12, s0, 0, v9, s0
	v_sub_co_u32 v13, s0, v7, s18
	v_sub_co_ci_u32_e32 v8, vcc_lo, v6, v8, vcc_lo
	v_subrev_co_ci_u32_e64 v10, s0, 0, v10, s0
	v_cmp_le_u32_e32 vcc_lo, s18, v13
	v_cmp_eq_u32_e64 s0, s19, v8
	v_cndmask_b32_e64 v13, 0, -1, vcc_lo
	v_cmp_le_u32_e32 vcc_lo, s19, v10
	v_cndmask_b32_e64 v14, 0, -1, vcc_lo
	v_cmp_le_u32_e32 vcc_lo, s18, v7
	;; [unrolled: 2-line block ×3, first 2 shown]
	v_cndmask_b32_e64 v15, 0, -1, vcc_lo
	v_cmp_eq_u32_e32 vcc_lo, s19, v10
	v_cndmask_b32_e64 v7, v15, v7, s0
	v_cndmask_b32_e32 v10, v14, v13, vcc_lo
	v_add_co_u32 v13, vcc_lo, v4, 1
	v_add_co_ci_u32_e32 v14, vcc_lo, 0, v9, vcc_lo
	v_cmp_ne_u32_e32 vcc_lo, 0, v10
	v_cndmask_b32_e32 v8, v14, v12, vcc_lo
	v_cndmask_b32_e32 v10, v13, v11, vcc_lo
	v_cmp_ne_u32_e32 vcc_lo, 0, v7
	v_cndmask_b32_e32 v8, v9, v8, vcc_lo
	v_cndmask_b32_e32 v7, v4, v10, vcc_lo
.LBB0_4:                                ;   in Loop: Header=BB0_2 Depth=1
	s_andn2_saveexec_b32 s0, s1
	s_cbranch_execz .LBB0_6
; %bb.5:                                ;   in Loop: Header=BB0_2 Depth=1
	v_cvt_f32_u32_e32 v4, s18
	s_sub_i32 s1, 0, s18
	v_rcp_iflag_f32_e32 v4, v4
	v_mul_f32_e32 v4, 0x4f7ffffe, v4
	v_cvt_u32_f32_e32 v4, v4
	v_mul_lo_u32 v7, s1, v4
	v_mul_hi_u32 v7, v4, v7
	v_add_nc_u32_e32 v4, v4, v7
	v_mul_hi_u32 v4, v5, v4
	v_mul_lo_u32 v7, v4, s18
	v_add_nc_u32_e32 v8, 1, v4
	v_sub_nc_u32_e32 v7, v5, v7
	v_subrev_nc_u32_e32 v9, s18, v7
	v_cmp_le_u32_e32 vcc_lo, s18, v7
	v_cndmask_b32_e32 v7, v7, v9, vcc_lo
	v_cndmask_b32_e32 v4, v4, v8, vcc_lo
	v_cmp_le_u32_e32 vcc_lo, s18, v7
	v_add_nc_u32_e32 v8, 1, v4
	v_cndmask_b32_e32 v7, v4, v8, vcc_lo
	v_mov_b32_e32 v8, v3
.LBB0_6:                                ;   in Loop: Header=BB0_2 Depth=1
	s_or_b32 exec_lo, exec_lo, s0
	s_load_dwordx2 s[0:1], s[6:7], 0x0
	v_mul_lo_u32 v4, v8, s18
	v_mul_lo_u32 v11, v7, s19
	v_mad_u64_u32 v[9:10], null, v7, s18, 0
	s_add_u32 s16, s16, 1
	s_addc_u32 s17, s17, 0
	s_add_u32 s6, s6, 8
	s_addc_u32 s7, s7, 0
	;; [unrolled: 2-line block ×3, first 2 shown]
	v_add3_u32 v4, v10, v11, v4
	v_sub_co_u32 v5, vcc_lo, v5, v9
	v_sub_co_ci_u32_e32 v4, vcc_lo, v6, v4, vcc_lo
	s_waitcnt lgkmcnt(0)
	v_mul_lo_u32 v6, s1, v5
	v_mul_lo_u32 v4, s0, v4
	v_mad_u64_u32 v[1:2], null, s0, v5, v[1:2]
	v_cmp_ge_u64_e64 s0, s[16:17], s[10:11]
	s_and_b32 vcc_lo, exec_lo, s0
	v_add3_u32 v2, v6, v2, v4
	s_cbranch_vccnz .LBB0_9
; %bb.7:                                ;   in Loop: Header=BB0_2 Depth=1
	v_mov_b32_e32 v5, v7
	v_mov_b32_e32 v6, v8
	s_branch .LBB0_2
.LBB0_8:
	v_mov_b32_e32 v8, v6
	v_mov_b32_e32 v7, v5
.LBB0_9:
	s_lshl_b64 s[0:1], s[10:11], 3
	v_mul_hi_u32 v3, 0x2828283, v0
	s_add_u32 s0, s12, s0
	s_addc_u32 s1, s13, s1
	s_load_dwordx2 s[0:1], s[0:1], 0x0
	s_load_dwordx2 s[4:5], s[4:5], 0x20
	v_mul_u32_u24_e32 v3, 0x66, v3
	s_waitcnt lgkmcnt(0)
	v_mul_lo_u32 v4, s0, v8
	v_mul_lo_u32 v5, s1, v7
	v_mad_u64_u32 v[1:2], null, s0, v7, v[1:2]
	v_cmp_gt_u64_e32 vcc_lo, s[4:5], v[7:8]
	v_add3_u32 v2, v5, v2, v4
	v_sub_nc_u32_e32 v4, v0, v3
	v_mov_b32_e32 v5, 0
	v_lshlrev_b64 v[82:83], 4, v[1:2]
	v_mov_b32_e32 v80, v4
	s_and_saveexec_b32 s1, vcc_lo
	s_cbranch_execz .LBB0_13
; %bb.10:
	v_lshlrev_b64 v[0:1], 4, v[4:5]
	v_add_co_u32 v2, s0, s2, v82
	v_add_co_ci_u32_e64 v3, s0, s3, v83, s0
	v_lshl_add_u32 v42, v4, 4, 0
	v_add_co_u32 v0, s0, v2, v0
	v_add_co_ci_u32_e64 v1, s0, v3, v1, s0
	s_mov_b32 s4, exec_lo
	v_add_co_u32 v14, s0, 0x800, v0
	v_add_co_ci_u32_e64 v15, s0, 0, v1, s0
	v_add_co_u32 v18, s0, 0x1000, v0
	v_add_co_ci_u32_e64 v19, s0, 0, v1, s0
	v_add_co_u32 v26, s0, 0x1800, v0
	v_add_co_ci_u32_e64 v27, s0, 0, v1, s0
	v_add_co_u32 v30, s0, 0x2000, v0
	v_add_co_ci_u32_e64 v31, s0, 0, v1, s0
	v_add_co_u32 v34, s0, 0x2800, v0
	v_add_co_ci_u32_e64 v35, s0, 0, v1, s0
	s_clause 0x3
	global_load_dwordx4 v[6:9], v[0:1], off
	global_load_dwordx4 v[10:13], v[0:1], off offset:1632
	global_load_dwordx4 v[14:17], v[14:15], off offset:1216
	;; [unrolled: 1-line block ×3, first 2 shown]
	v_add_co_u32 v0, s0, 0x3000, v0
	v_add_co_ci_u32_e64 v1, s0, 0, v1, s0
	s_clause 0x4
	global_load_dwordx4 v[22:25], v[26:27], off offset:384
	global_load_dwordx4 v[26:29], v[26:27], off offset:2016
	;; [unrolled: 1-line block ×5, first 2 shown]
	v_mov_b32_e32 v0, v4
	v_mov_b32_e32 v1, v5
	s_waitcnt vmcnt(8)
	ds_write_b128 v42, v[6:9]
	s_waitcnt vmcnt(7)
	ds_write_b128 v42, v[10:13] offset:1632
	s_waitcnt vmcnt(6)
	ds_write_b128 v42, v[14:17] offset:3264
	;; [unrolled: 2-line block ×8, first 2 shown]
	v_cmpx_eq_u32_e32 0x65, v4
	s_cbranch_execz .LBB0_12
; %bb.11:
	v_add_co_u32 v0, s0, 0x3800, v2
	v_add_co_ci_u32_e64 v1, s0, 0, v3, s0
	v_mov_b32_e32 v2, 0
	v_mov_b32_e32 v4, 0x65
	global_load_dwordx4 v[5:8], v[0:1], off offset:352
	v_mov_b32_e32 v0, 0x65
	v_mov_b32_e32 v1, 0
	s_waitcnt vmcnt(0)
	ds_write_b128 v2, v[5:8] offset:14688
.LBB0_12:
	s_or_b32 exec_lo, exec_lo, s4
	v_mov_b32_e32 v80, v4
	v_mov_b32_e32 v5, v1
	;; [unrolled: 1-line block ×3, first 2 shown]
.LBB0_13:
	s_or_b32 exec_lo, exec_lo, s1
	v_lshlrev_b32_e32 v0, 4, v80
	s_waitcnt lgkmcnt(0)
	s_barrier
	buffer_gl0_inv
	v_lshlrev_b64 v[84:85], 4, v[4:5]
	v_add_nc_u32_e32 v182, 0, v0
	v_sub_nc_u32_e32 v10, 0, v0
	s_add_u32 s1, s8, 0x3850
	s_addc_u32 s4, s9, 0
	s_mov_b32 s5, exec_lo
	ds_read_b64 v[6:7], v182
	ds_read_b64 v[8:9], v10 offset:14688
	s_waitcnt lgkmcnt(0)
	v_add_f64 v[0:1], v[6:7], v[8:9]
	v_add_f64 v[2:3], v[6:7], -v[8:9]
	v_cmpx_ne_u32_e32 0, v80
	s_xor_b32 s5, exec_lo, s5
	s_cbranch_execz .LBB0_15
; %bb.14:
	v_add_co_u32 v0, s0, s1, v84
	v_add_co_ci_u32_e64 v1, s0, s4, v85, s0
	v_add_f64 v[13:14], v[6:7], v[8:9]
	v_add_f64 v[8:9], v[6:7], -v[8:9]
	global_load_dwordx4 v[2:5], v[0:1], off
	ds_read_b64 v[0:1], v10 offset:14696
	ds_read_b64 v[11:12], v182 offset:8
	s_waitcnt lgkmcnt(0)
	v_add_f64 v[6:7], v[0:1], v[11:12]
	v_add_f64 v[0:1], v[11:12], -v[0:1]
	s_waitcnt vmcnt(0)
	v_fma_f64 v[11:12], v[8:9], v[4:5], v[13:14]
	v_fma_f64 v[13:14], -v[8:9], v[4:5], v[13:14]
	v_fma_f64 v[15:16], v[6:7], v[4:5], -v[0:1]
	v_fma_f64 v[17:18], v[6:7], v[4:5], v[0:1]
	v_fma_f64 v[0:1], -v[6:7], v[2:3], v[11:12]
	v_fma_f64 v[4:5], v[6:7], v[2:3], v[13:14]
	v_fma_f64 v[6:7], v[8:9], v[2:3], v[15:16]
	;; [unrolled: 1-line block ×3, first 2 shown]
	ds_write_b128 v10, v[4:7] offset:14688
.LBB0_15:
	s_andn2_saveexec_b32 s0, s5
	s_cbranch_execz .LBB0_17
; %bb.16:
	v_mov_b32_e32 v8, 0
	ds_read_b128 v[4:7], v8 offset:7344
	s_waitcnt lgkmcnt(0)
	v_add_f64 v[4:5], v[4:5], v[4:5]
	v_mul_f64 v[6:7], v[6:7], -2.0
	ds_write_b128 v8, v[4:7] offset:7344
.LBB0_17:
	s_or_b32 exec_lo, exec_lo, s0
	v_mov_b32_e32 v81, 0
	ds_write_b128 v182, v[0:3]
	v_lshlrev_b64 v[86:87], 4, v[80:81]
	v_add_co_u32 v4, s0, s1, v86
	v_add_co_ci_u32_e64 v5, s0, s4, v87, s0
	v_add_co_u32 v11, s0, 0x800, v4
	global_load_dwordx4 v[6:9], v[4:5], off offset:1632
	v_add_co_ci_u32_e64 v12, s0, 0, v5, s0
	v_add_co_u32 v15, s0, 0x1000, v4
	v_add_co_ci_u32_e64 v16, s0, 0, v5, s0
	global_load_dwordx4 v[11:14], v[11:12], off offset:1216
	v_cmp_gt_u32_e64 s0, 51, v80
	global_load_dwordx4 v[15:18], v[15:16], off offset:800
	ds_read_b128 v[0:3], v182 offset:1632
	ds_read_b128 v[19:22], v10 offset:13056
	s_waitcnt lgkmcnt(0)
	v_add_f64 v[23:24], v[0:1], v[19:20]
	v_add_f64 v[25:26], v[21:22], v[2:3]
	v_add_f64 v[27:28], v[0:1], -v[19:20]
	v_add_f64 v[0:1], v[2:3], -v[21:22]
	s_waitcnt vmcnt(2)
	v_fma_f64 v[2:3], v[27:28], v[8:9], v[23:24]
	v_fma_f64 v[19:20], v[25:26], v[8:9], v[0:1]
	v_fma_f64 v[21:22], -v[27:28], v[8:9], v[23:24]
	v_fma_f64 v[8:9], v[25:26], v[8:9], -v[0:1]
	v_fma_f64 v[0:1], -v[25:26], v[6:7], v[2:3]
	v_fma_f64 v[2:3], v[27:28], v[6:7], v[19:20]
	v_fma_f64 v[19:20], v[25:26], v[6:7], v[21:22]
	v_fma_f64 v[21:22], v[27:28], v[6:7], v[8:9]
	ds_write_b128 v182, v[0:3] offset:1632
	ds_write_b128 v10, v[19:22] offset:13056
	ds_read_b128 v[0:3], v182 offset:3264
	ds_read_b128 v[6:9], v10 offset:11424
	s_waitcnt lgkmcnt(0)
	v_add_f64 v[19:20], v[0:1], v[6:7]
	v_add_f64 v[21:22], v[8:9], v[2:3]
	v_add_f64 v[23:24], v[0:1], -v[6:7]
	v_add_f64 v[0:1], v[2:3], -v[8:9]
	s_waitcnt vmcnt(1)
	v_fma_f64 v[2:3], v[23:24], v[13:14], v[19:20]
	v_fma_f64 v[6:7], v[21:22], v[13:14], v[0:1]
	v_fma_f64 v[8:9], -v[23:24], v[13:14], v[19:20]
	v_fma_f64 v[13:14], v[21:22], v[13:14], -v[0:1]
	v_fma_f64 v[0:1], -v[21:22], v[11:12], v[2:3]
	v_fma_f64 v[2:3], v[23:24], v[11:12], v[6:7]
	v_fma_f64 v[6:7], v[21:22], v[11:12], v[8:9]
	v_fma_f64 v[8:9], v[23:24], v[11:12], v[13:14]
	ds_write_b128 v182, v[0:3] offset:3264
	ds_write_b128 v10, v[6:9] offset:11424
	;; [unrolled: 18-line block ×3, first 2 shown]
	s_and_saveexec_b32 s4, s0
	s_cbranch_execz .LBB0_19
; %bb.18:
	v_add_co_u32 v0, s1, 0x1800, v4
	v_add_co_ci_u32_e64 v1, s1, 0, v5, s1
	global_load_dwordx4 v[0:3], v[0:1], off offset:384
	ds_read_b128 v[4:7], v182 offset:6528
	ds_read_b128 v[11:14], v10 offset:8160
	s_waitcnt lgkmcnt(0)
	v_add_f64 v[8:9], v[4:5], v[11:12]
	v_add_f64 v[15:16], v[13:14], v[6:7]
	v_add_f64 v[11:12], v[4:5], -v[11:12]
	v_add_f64 v[4:5], v[6:7], -v[13:14]
	s_waitcnt vmcnt(0)
	v_fma_f64 v[6:7], v[11:12], v[2:3], v[8:9]
	v_fma_f64 v[13:14], v[15:16], v[2:3], v[4:5]
	v_fma_f64 v[8:9], -v[11:12], v[2:3], v[8:9]
	v_fma_f64 v[17:18], v[15:16], v[2:3], -v[4:5]
	v_fma_f64 v[2:3], -v[15:16], v[0:1], v[6:7]
	v_fma_f64 v[4:5], v[11:12], v[0:1], v[13:14]
	v_fma_f64 v[6:7], v[15:16], v[0:1], v[8:9]
	;; [unrolled: 1-line block ×3, first 2 shown]
	ds_write_b128 v182, v[2:5] offset:6528
	ds_write_b128 v10, v[6:9] offset:8160
.LBB0_19:
	s_or_b32 exec_lo, exec_lo, s4
	s_waitcnt lgkmcnt(0)
	s_barrier
	buffer_gl0_inv
	s_barrier
	buffer_gl0_inv
	ds_read_b128 v[4:7], v182 offset:13824
	ds_read_b128 v[64:67], v182 offset:864
	ds_read_b128 v[8:11], v182 offset:12960
	ds_read_b128 v[20:23], v182
	ds_read_b128 v[68:71], v182 offset:1728
	ds_read_b128 v[60:63], v182 offset:2592
	s_mov_b32 s6, 0xacd6c6b4
	s_mov_b32 s7, 0xbfc7851a
	ds_read_b128 v[12:15], v182 offset:12096
	s_mov_b32 s4, 0x7faef3
	s_mov_b32 s10, 0x5d8e7cdc
	;; [unrolled: 1-line block ×4, first 2 shown]
	ds_read_b128 v[16:19], v182 offset:11232
	ds_read_b128 v[56:59], v182 offset:3456
	s_mov_b32 s12, 0x370991
	s_mov_b32 s14, 0x4363dd80
	;; [unrolled: 1-line block ×4, first 2 shown]
	ds_read_b128 v[48:51], v182 offset:4320
	ds_read_b128 v[24:27], v182 offset:10368
	s_mov_b32 s16, 0x910ea3b9
	s_waitcnt lgkmcnt(9)
	v_add_f64 v[146:147], v[66:67], -v[6:7]
	v_add_f64 v[136:137], v[64:65], -v[4:5]
	v_add_f64 v[126:127], v[64:65], v[4:5]
	v_add_f64 v[150:151], v[66:67], v[6:7]
	s_waitcnt lgkmcnt(6)
	v_add_f64 v[122:123], v[70:71], -v[10:11]
	v_add_f64 v[88:89], v[68:69], -v[8:9]
	v_add_f64 v[94:95], v[68:69], v[8:9]
	v_add_f64 v[144:145], v[70:71], v[10:11]
	;; [unrolled: 5-line block ×3, first 2 shown]
	s_mov_b32 s24, 0x2a9d6da3
	s_waitcnt lgkmcnt(2)
	v_add_f64 v[102:103], v[58:59], -v[18:19]
	v_add_f64 v[92:93], v[56:57], -v[16:17]
	s_mov_b32 s17, 0xbfeb34fa
	s_mov_b32 s25, 0x3fe58eea
	v_add_f64 v[106:107], v[56:57], v[16:17]
	v_add_f64 v[128:129], v[58:59], v[18:19]
	s_waitcnt lgkmcnt(0)
	v_add_f64 v[112:113], v[50:51], -v[26:27]
	v_add_f64 v[96:97], v[48:49], -v[24:25]
	ds_read_b128 v[28:31], v182 offset:9504
	ds_read_b128 v[52:55], v182 offset:5184
	v_mul_f64 v[74:75], v[146:147], s[6:7]
	v_mul_f64 v[76:77], v[136:137], s[6:7]
	s_mov_b32 s30, 0x75d4884
	v_mul_f64 v[72:73], v[122:123], s[10:11]
	v_mul_f64 v[170:171], v[88:89], s[10:11]
	s_mov_b32 s18, 0x6c9a05f6
	s_mov_b32 s31, 0x3fe7a5f6
	v_mul_f64 v[154:155], v[98:99], s[14:15]
	v_mul_f64 v[162:163], v[90:91], s[14:15]
	s_mov_b32 s19, 0xbfe9895b
	v_add_f64 v[108:109], v[48:49], v[24:25]
	v_add_f64 v[134:135], v[50:51], v[26:27]
	v_mul_f64 v[160:161], v[102:103], s[24:25]
	v_mul_f64 v[172:173], v[92:93], s[24:25]
	s_mov_b32 s20, 0x6ed5f1bb
	s_mov_b32 s22, 0x7c9e640b
	;; [unrolled: 1-line block ×4, first 2 shown]
	v_mul_f64 v[164:165], v[112:113], s[18:19]
	s_waitcnt lgkmcnt(0)
	v_add_f64 v[124:125], v[54:55], -v[30:31]
	v_add_f64 v[104:105], v[52:53], -v[28:29]
	v_mul_f64 v[168:169], v[96:97], s[18:19]
	v_fma_f64 v[0:1], v[126:127], s[4:5], v[74:75]
	v_fma_f64 v[2:3], v[150:151], s[4:5], -v[76:77]
	v_add_f64 v[120:121], v[52:53], v[28:29]
	v_fma_f64 v[32:33], v[94:95], s[12:13], v[72:73]
	v_fma_f64 v[34:35], v[144:145], s[12:13], -v[170:171]
	v_add_f64 v[142:143], v[54:55], v[30:31]
	s_mov_b32 s26, 0x2b2883cd
	v_fma_f64 v[36:37], v[100:101], s[16:17], v[154:155]
	v_fma_f64 v[38:39], v[148:149], s[16:17], -v[162:163]
	s_mov_b32 s28, 0x923c349f
	s_mov_b32 s27, 0x3fdc86fa
	;; [unrolled: 1-line block ×3, first 2 shown]
	v_fma_f64 v[78:79], v[106:107], s[30:31], v[160:161]
	v_fma_f64 v[114:115], v[128:129], s[30:31], -v[172:173]
	s_mov_b32 s34, 0xc61f0d01
	s_mov_b32 s36, 0xeb564b22
	;; [unrolled: 1-line block ×4, first 2 shown]
	v_fma_f64 v[118:119], v[108:109], s[20:21], v[164:165]
	v_mul_f64 v[152:153], v[124:125], s[22:23]
	v_mul_f64 v[166:167], v[104:105], s[22:23]
	v_fma_f64 v[140:141], v[134:135], s[20:21], -v[168:169]
	v_add_f64 v[0:1], v[20:21], v[0:1]
	v_add_f64 v[2:3], v[22:23], v[2:3]
	s_mov_b32 s38, 0x3259b75e
	s_mov_b32 s39, 0x3fb79ee6
	s_mov_b32 s33, exec_lo
	v_fma_f64 v[176:177], v[120:121], s[26:27], v[152:153]
	v_fma_f64 v[178:179], v[142:143], s[26:27], -v[166:167]
	v_add_f64 v[0:1], v[32:33], v[0:1]
	v_add_f64 v[2:3], v[34:35], v[2:3]
	ds_read_b128 v[44:47], v182 offset:6048
	ds_read_b128 v[32:35], v182 offset:8640
	s_waitcnt lgkmcnt(0)
	v_add_f64 v[132:133], v[46:47], -v[34:35]
	v_add_f64 v[0:1], v[36:37], v[0:1]
	v_add_f64 v[2:3], v[38:39], v[2:3]
	v_add_f64 v[110:111], v[44:45], -v[32:33]
	ds_read_b128 v[40:43], v182 offset:6912
	ds_read_b128 v[36:39], v182 offset:7776
	v_add_f64 v[116:117], v[44:45], v[32:33]
	v_add_f64 v[138:139], v[46:47], v[34:35]
	s_waitcnt lgkmcnt(0)
	s_barrier
	buffer_gl0_inv
	v_mul_f64 v[158:159], v[132:133], s[28:29]
	v_add_f64 v[0:1], v[78:79], v[0:1]
	v_add_f64 v[2:3], v[114:115], v[2:3]
	v_add_f64 v[130:131], v[42:43], -v[38:39]
	v_add_f64 v[114:115], v[40:41], -v[36:37]
	v_mul_f64 v[174:175], v[110:111], s[28:29]
	v_fma_f64 v[180:181], v[116:117], s[34:35], v[158:159]
	v_add_f64 v[0:1], v[118:119], v[0:1]
	v_add_f64 v[2:3], v[140:141], v[2:3]
	;; [unrolled: 1-line block ×4, first 2 shown]
	v_mul_f64 v[78:79], v[130:131], s[36:37]
	v_mul_f64 v[156:157], v[114:115], s[36:37]
	v_fma_f64 v[183:184], v[138:139], s[34:35], -v[174:175]
	v_add_f64 v[0:1], v[176:177], v[0:1]
	v_add_f64 v[2:3], v[178:179], v[2:3]
	v_fma_f64 v[176:177], v[118:119], s[38:39], v[78:79]
	v_fma_f64 v[178:179], v[140:141], s[38:39], -v[156:157]
	v_add_f64 v[0:1], v[180:181], v[0:1]
	v_add_f64 v[2:3], v[183:184], v[2:3]
	;; [unrolled: 1-line block ×4, first 2 shown]
	v_cmpx_gt_u32_e32 54, v80
	s_cbranch_execz .LBB0_21
; %bb.20:
	v_mul_f64 v[180:181], v[150:151], s[4:5]
	v_mul_f64 v[178:179], v[126:127], s[4:5]
	;; [unrolled: 1-line block ×4, first 2 shown]
	s_mov_b32 s41, 0x3fe0d888
	s_mov_b32 s40, s14
	v_mul_f64 v[185:186], v[128:129], s[30:31]
	v_add_f64 v[66:67], v[22:23], v[66:67]
	s_mov_b32 s43, 0xbfeca52d
	s_mov_b32 s42, s22
	;; [unrolled: 1-line block ×4, first 2 shown]
	v_add_f64 v[64:65], v[20:21], v[64:65]
	v_mul_f64 v[189:190], v[134:135], s[20:21]
	v_mul_f64 v[191:192], v[108:109], s[20:21]
	;; [unrolled: 1-line block ×3, first 2 shown]
	s_mov_b32 s45, 0x3fe9895b
	s_mov_b32 s44, s18
	;; [unrolled: 1-line block ×6, first 2 shown]
	v_add_f64 v[76:77], v[76:77], v[180:181]
	v_mul_f64 v[180:181], v[94:95], s[12:13]
	v_add_f64 v[74:75], v[178:179], -v[74:75]
	v_mul_f64 v[178:179], v[148:149], s[16:17]
	v_add_f64 v[170:171], v[170:171], v[176:177]
	v_mul_f64 v[176:177], v[100:101], s[16:17]
	v_fma_f64 v[187:188], v[126:127], s[16:17], v[183:184]
	v_add_f64 v[172:173], v[172:173], v[185:186]
	v_mul_f64 v[195:196], v[148:149], s[12:13]
	s_mov_b32 s51, 0x3fc7851a
	s_mov_b32 s50, s6
	;; [unrolled: 1-line block ×4, first 2 shown]
	v_add_f64 v[168:169], v[168:169], v[189:190]
	v_mul_f64 v[189:190], v[116:117], s[34:35]
	v_add_f64 v[164:165], v[191:192], -v[164:165]
	v_add_f64 v[166:167], v[166:167], v[193:194]
	v_mul_f64 v[193:194], v[146:147], s[18:19]
	v_mul_f64 v[191:192], v[140:141], s[38:39]
	v_add_f64 v[76:77], v[22:23], v[76:77]
	v_add_f64 v[72:73], v[180:181], -v[72:73]
	v_add_f64 v[74:75], v[20:21], v[74:75]
	v_mul_f64 v[180:181], v[150:151], s[16:17]
	v_add_f64 v[162:163], v[162:163], v[178:179]
	v_add_f64 v[154:155], v[176:177], -v[154:155]
	v_mul_f64 v[178:179], v[122:123], s[22:23]
	v_add_f64 v[185:186], v[20:21], v[187:188]
	v_add_f64 v[187:188], v[64:65], v[68:69]
	v_mul_f64 v[64:65], v[120:121], s[26:27]
	v_mul_f64 v[68:69], v[138:139], s[34:35]
	v_add_f64 v[158:159], v[189:190], -v[158:159]
	v_add_f64 v[156:157], v[156:157], v[191:192]
	v_mul_f64 v[191:192], v[142:143], s[4:5]
	v_add_f64 v[76:77], v[170:171], v[76:77]
	v_mul_f64 v[170:171], v[106:107], s[30:31]
	;; [unrolled: 2-line block ×3, first 2 shown]
	v_fma_f64 v[176:177], v[136:137], s[40:41], v[180:181]
	v_fma_f64 v[180:181], v[136:137], s[14:15], v[180:181]
	v_add_f64 v[60:61], v[187:188], v[60:61]
	v_add_f64 v[64:65], v[64:65], -v[152:153]
	v_mul_f64 v[152:153], v[118:119], s[38:39]
	v_add_f64 v[68:69], v[174:175], v[68:69]
	v_mul_f64 v[174:175], v[134:135], s[12:13]
	v_add_f64 v[76:77], v[162:163], v[76:77]
	v_add_f64 v[160:161], v[170:171], -v[160:161]
	v_add_f64 v[72:73], v[154:155], v[72:73]
	v_mul_f64 v[154:155], v[148:149], s[38:39]
	v_mul_f64 v[162:163], v[98:99], s[46:47]
	v_add_f64 v[170:171], v[66:67], v[70:71]
	v_fma_f64 v[66:67], v[88:89], s[42:43], v[74:75]
	v_fma_f64 v[70:71], v[126:127], s[16:17], -v[183:184]
	v_add_f64 v[176:177], v[22:23], v[176:177]
	v_fma_f64 v[183:184], v[94:95], s[26:27], v[178:179]
	v_fma_f64 v[74:75], v[88:89], s[22:23], v[74:75]
	v_add_f64 v[180:181], v[22:23], v[180:181]
	v_fma_f64 v[178:179], v[94:95], s[26:27], -v[178:179]
	v_add_f64 v[56:57], v[60:61], v[56:57]
	v_add_f64 v[76:77], v[172:173], v[76:77]
	v_mul_f64 v[172:173], v[128:129], s[20:21]
	v_add_f64 v[72:73], v[160:161], v[72:73]
	v_mul_f64 v[160:161], v[150:151], s[20:21]
	;; [unrolled: 2-line block ×3, first 2 shown]
	v_add_f64 v[70:71], v[20:21], v[70:71]
	v_add_f64 v[66:67], v[66:67], v[176:177]
	v_fma_f64 v[176:177], v[90:91], s[36:37], v[154:155]
	v_add_f64 v[183:184], v[183:184], v[185:186]
	v_fma_f64 v[185:186], v[100:101], s[38:39], v[162:163]
	v_add_f64 v[74:75], v[74:75], v[180:181]
	v_mul_f64 v[180:181], v[102:103], s[44:45]
	v_fma_f64 v[154:155], v[90:91], s[46:47], v[154:155]
	v_fma_f64 v[162:163], v[100:101], s[38:39], -v[162:163]
	v_add_f64 v[48:49], v[56:57], v[48:49]
	v_add_f64 v[76:77], v[168:169], v[76:77]
	v_mul_f64 v[168:169], v[144:145], s[34:35]
	v_add_f64 v[72:73], v[164:165], v[72:73]
	v_mul_f64 v[164:165], v[122:123], s[52:53]
	v_fma_f64 v[189:190], v[136:137], s[44:45], v[160:161]
	v_fma_f64 v[160:161], v[136:137], s[18:19], v[160:161]
	v_add_f64 v[58:59], v[62:63], v[58:59]
	v_add_f64 v[70:71], v[178:179], v[70:71]
	v_fma_f64 v[178:179], v[92:93], s[18:19], v[172:173]
	v_add_f64 v[66:67], v[176:177], v[66:67]
	v_fma_f64 v[176:177], v[126:127], s[20:21], v[193:194]
	;; [unrolled: 2-line block ×3, first 2 shown]
	v_fma_f64 v[185:186], v[106:107], s[20:21], v[180:181]
	v_add_f64 v[74:75], v[154:155], v[74:75]
	v_mul_f64 v[154:155], v[112:113], s[48:49]
	v_fma_f64 v[180:181], v[106:107], s[20:21], -v[180:181]
	v_fma_f64 v[60:61], v[94:95], s[16:17], v[170:171]
	v_fma_f64 v[170:171], v[94:95], s[16:17], -v[170:171]
	v_add_f64 v[48:49], v[48:49], v[52:53]
	v_mul_f64 v[52:53], v[148:149], s[34:35]
	v_add_f64 v[76:77], v[166:167], v[76:77]
	v_mul_f64 v[166:167], v[124:125], s[6:7]
	v_add_f64 v[64:65], v[64:65], v[72:73]
	v_add_f64 v[72:73], v[152:153], -v[78:79]
	v_fma_f64 v[78:79], v[88:89], s[28:29], v[168:169]
	v_add_f64 v[152:153], v[22:23], v[189:190]
	v_mul_f64 v[189:190], v[128:129], s[16:17]
	v_add_f64 v[70:71], v[162:163], v[70:71]
	v_fma_f64 v[162:163], v[94:95], s[34:35], v[164:165]
	v_add_f64 v[66:67], v[178:179], v[66:67]
	v_add_f64 v[176:177], v[20:21], v[176:177]
	v_fma_f64 v[178:179], v[96:97], s[10:11], v[174:175]
	v_fma_f64 v[174:175], v[96:97], s[48:49], v[174:175]
	v_add_f64 v[183:184], v[185:186], v[183:184]
	v_add_f64 v[74:75], v[172:173], v[74:75]
	v_fma_f64 v[185:186], v[108:109], s[12:13], v[154:155]
	v_mul_f64 v[172:173], v[98:99], s[48:49]
	v_add_f64 v[160:161], v[22:23], v[160:161]
	v_fma_f64 v[164:165], v[94:95], s[34:35], -v[164:165]
	v_add_f64 v[50:51], v[58:59], v[50:51]
	v_mul_f64 v[58:59], v[144:145], s[4:5]
	v_add_f64 v[48:49], v[48:49], v[44:45]
	v_add_f64 v[68:69], v[68:69], v[76:77]
	v_mul_f64 v[76:77], v[138:139], s[30:31]
	v_add_f64 v[64:65], v[158:159], v[64:65]
	v_mul_f64 v[158:159], v[132:133], s[24:25]
	v_add_f64 v[78:79], v[78:79], v[152:153]
	v_fma_f64 v[152:153], v[108:109], s[12:13], -v[154:155]
	v_add_f64 v[70:71], v[180:181], v[70:71]
	v_fma_f64 v[154:155], v[90:91], s[10:11], v[195:196]
	v_fma_f64 v[180:181], v[120:121], s[4:5], v[166:167]
	v_add_f64 v[162:163], v[162:163], v[176:177]
	v_fma_f64 v[176:177], v[104:105], s[50:51], v[191:192]
	v_add_f64 v[178:179], v[178:179], v[66:67]
	;; [unrolled: 2-line block ×3, first 2 shown]
	v_add_f64 v[183:184], v[185:186], v[183:184]
	v_fma_f64 v[185:186], v[100:101], s[12:13], v[172:173]
	v_mul_f64 v[174:175], v[102:103], s[14:15]
	v_add_f64 v[50:51], v[50:51], v[54:55]
	v_fma_f64 v[54:55], v[88:89], s[50:51], v[58:59]
	v_fma_f64 v[58:59], v[88:89], s[6:7], v[58:59]
	v_add_f64 v[66:67], v[156:157], v[68:69]
	v_fma_f64 v[156:157], v[120:121], s[4:5], -v[166:167]
	v_add_f64 v[64:65], v[72:73], v[64:65]
	v_mul_f64 v[72:73], v[130:131], s[28:29]
	v_mul_f64 v[166:167], v[134:135], s[38:39]
	;; [unrolled: 1-line block ×3, first 2 shown]
	v_add_f64 v[70:71], v[152:153], v[70:71]
	v_add_f64 v[78:79], v[154:155], v[78:79]
	v_fma_f64 v[152:153], v[92:93], s[40:41], v[189:190]
	v_fma_f64 v[189:190], v[92:93], s[14:15], v[189:190]
	v_add_f64 v[154:155], v[176:177], v[178:179]
	v_fma_f64 v[176:177], v[110:111], s[54:55], v[76:77]
	v_fma_f64 v[76:77], v[110:111], s[24:25], v[76:77]
	v_add_f64 v[178:179], v[180:181], v[183:184]
	v_fma_f64 v[180:181], v[116:117], s[30:31], v[158:159]
	v_add_f64 v[162:163], v[185:186], v[162:163]
	;; [unrolled: 2-line block ×3, first 2 shown]
	v_mul_f64 v[185:186], v[112:113], s[36:37]
	v_fma_f64 v[158:159], v[116:117], s[30:31], -v[158:159]
	v_mul_f64 v[191:192], v[138:139], s[4:5]
	v_fma_f64 v[174:175], v[106:107], s[16:17], -v[174:175]
	v_add_f64 v[46:47], v[50:51], v[46:47]
	v_fma_f64 v[197:198], v[114:115], s[28:29], v[68:69]
	v_add_f64 v[70:71], v[156:157], v[70:71]
	v_mul_f64 v[156:157], v[142:143], s[30:31]
	v_add_f64 v[78:79], v[152:153], v[78:79]
	v_fma_f64 v[152:153], v[114:115], s[52:53], v[68:69]
	v_add_f64 v[154:155], v[176:177], v[154:155]
	v_fma_f64 v[176:177], v[118:119], s[34:35], v[72:73]
	v_fma_f64 v[72:73], v[118:119], s[34:35], -v[72:73]
	v_add_f64 v[178:179], v[180:181], v[178:179]
	v_mul_f64 v[180:181], v[124:125], s[54:55]
	v_add_f64 v[162:163], v[183:184], v[162:163]
	v_fma_f64 v[183:184], v[96:97], s[46:47], v[166:167]
	v_add_f64 v[74:75], v[76:77], v[74:75]
	v_fma_f64 v[76:77], v[108:109], s[38:39], v[185:186]
	v_fma_f64 v[166:167], v[96:97], s[36:37], v[166:167]
	v_add_f64 v[42:43], v[46:47], v[42:43]
	v_add_f64 v[46:47], v[48:49], v[40:41]
	;; [unrolled: 1-line block ×4, first 2 shown]
	v_mul_f64 v[154:155], v[140:141], s[26:27]
	v_mul_f64 v[152:153], v[130:131], s[22:23]
	v_add_f64 v[68:69], v[176:177], v[178:179]
	v_mul_f64 v[176:177], v[132:133], s[6:7]
	v_fma_f64 v[178:179], v[104:105], s[24:25], v[156:157]
	v_add_f64 v[183:184], v[183:184], v[78:79]
	v_fma_f64 v[199:200], v[120:121], s[30:31], v[180:181]
	v_add_f64 v[162:163], v[76:77], v[162:163]
	v_add_f64 v[78:79], v[197:198], v[74:75]
	v_fma_f64 v[156:157], v[104:105], s[54:55], v[156:157]
	v_fma_f64 v[180:181], v[120:121], s[30:31], -v[180:181]
	v_add_f64 v[38:39], v[42:43], v[38:39]
	v_add_f64 v[36:37], v[46:47], v[36:37]
	v_mul_f64 v[42:43], v[128:129], s[34:35]
	v_add_f64 v[76:77], v[72:73], v[158:159]
	v_fma_f64 v[72:73], v[110:111], s[50:51], v[191:192]
	v_fma_f64 v[191:192], v[110:111], s[6:7], v[191:192]
	v_fma_f64 v[158:159], v[116:117], s[4:5], v[176:177]
	v_fma_f64 v[176:177], v[116:117], s[4:5], -v[176:177]
	v_add_f64 v[74:75], v[178:179], v[183:184]
	v_fma_f64 v[178:179], v[114:115], s[42:43], v[154:155]
	v_add_f64 v[162:163], v[199:200], v[162:163]
	v_fma_f64 v[183:184], v[118:119], s[26:27], v[152:153]
	v_fma_f64 v[154:155], v[114:115], s[22:23], v[154:155]
	v_fma_f64 v[152:153], v[118:119], s[26:27], -v[152:153]
	v_add_f64 v[34:35], v[38:39], v[34:35]
	v_add_f64 v[36:37], v[36:37], v[32:33]
	v_add_f64 v[72:73], v[72:73], v[74:75]
	v_add_f64 v[158:159], v[158:159], v[162:163]
	v_fma_f64 v[162:163], v[88:89], s[52:53], v[168:169]
	v_fma_f64 v[168:169], v[126:127], s[20:21], -v[193:194]
	v_mul_f64 v[193:194], v[150:151], s[34:35]
	v_add_f64 v[30:31], v[34:35], v[30:31]
	v_add_f64 v[34:35], v[36:37], v[28:29]
	;; [unrolled: 1-line block ×3, first 2 shown]
	v_mul_f64 v[178:179], v[144:145], s[16:17]
	v_add_f64 v[72:73], v[183:184], v[158:159]
	v_mul_f64 v[158:159], v[146:147], s[28:29]
	v_add_f64 v[160:161], v[162:163], v[160:161]
	v_fma_f64 v[162:163], v[90:91], s[48:49], v[195:196]
	v_add_f64 v[168:169], v[20:21], v[168:169]
	v_fma_f64 v[183:184], v[136:137], s[52:53], v[193:194]
	v_fma_f64 v[193:194], v[136:137], s[28:29], v[193:194]
	v_mul_f64 v[195:196], v[102:103], s[10:11]
	v_add_f64 v[26:27], v[30:31], v[26:27]
	v_mul_f64 v[30:31], v[98:99], s[18:19]
	v_add_f64 v[24:25], v[34:35], v[24:25]
	v_fma_f64 v[187:188], v[126:127], s[34:35], v[158:159]
	v_fma_f64 v[158:159], v[126:127], s[34:35], -v[158:159]
	v_add_f64 v[160:161], v[162:163], v[160:161]
	v_fma_f64 v[162:163], v[100:101], s[12:13], -v[172:173]
	v_add_f64 v[164:165], v[164:165], v[168:169]
	v_fma_f64 v[168:169], v[88:89], s[14:15], v[178:179]
	v_add_f64 v[172:173], v[22:23], v[183:184]
	v_mul_f64 v[183:184], v[148:149], s[30:31]
	v_fma_f64 v[178:179], v[88:89], s[40:41], v[178:179]
	v_add_f64 v[193:194], v[22:23], v[193:194]
	v_add_f64 v[18:19], v[26:27], v[18:19]
	;; [unrolled: 1-line block ×3, first 2 shown]
	v_mul_f64 v[26:27], v[140:141], s[12:13]
	v_add_f64 v[62:63], v[20:21], v[187:188]
	v_mul_f64 v[187:188], v[98:99], s[24:25]
	v_add_f64 v[158:159], v[20:21], v[158:159]
	v_add_f64 v[160:161], v[189:190], v[160:161]
	v_add_f64 v[162:163], v[162:163], v[164:165]
	v_mul_f64 v[189:190], v[134:135], s[4:5]
	v_add_f64 v[164:165], v[168:169], v[172:173]
	v_fma_f64 v[168:169], v[90:91], s[54:55], v[183:184]
	v_mul_f64 v[172:173], v[128:129], s[26:27]
	v_add_f64 v[178:179], v[178:179], v[193:194]
	v_fma_f64 v[183:184], v[90:91], s[24:25], v[183:184]
	v_mul_f64 v[193:194], v[102:103], s[42:43]
	v_add_f64 v[14:15], v[18:19], v[14:15]
	v_add_f64 v[12:13], v[16:17], v[12:13]
	;; [unrolled: 1-line block ×3, first 2 shown]
	v_fma_f64 v[62:63], v[100:101], s[30:31], v[187:188]
	v_add_f64 v[158:159], v[170:171], v[158:159]
	v_add_f64 v[160:161], v[166:167], v[160:161]
	;; [unrolled: 1-line block ×3, first 2 shown]
	v_fma_f64 v[174:175], v[108:109], s[38:39], -v[185:186]
	v_mul_f64 v[185:186], v[150:151], s[38:39]
	v_add_f64 v[164:165], v[168:169], v[164:165]
	v_fma_f64 v[168:169], v[92:93], s[22:23], v[172:173]
	v_fma_f64 v[170:171], v[92:93], s[42:43], v[172:173]
	v_add_f64 v[178:179], v[183:184], v[178:179]
	v_fma_f64 v[183:184], v[106:107], s[26:27], v[193:194]
	v_mul_f64 v[172:173], v[112:113], s[6:7]
	v_fma_f64 v[187:188], v[100:101], s[30:31], -v[187:188]
	v_fma_f64 v[166:167], v[96:97], s[50:51], v[189:190]
	v_fma_f64 v[189:190], v[96:97], s[6:7], v[189:190]
	v_fma_f64 v[193:194], v[106:107], s[26:27], -v[193:194]
	v_add_f64 v[10:11], v[14:15], v[10:11]
	v_add_f64 v[14:15], v[12:13], v[8:9]
	;; [unrolled: 1-line block ×3, first 2 shown]
	v_mul_f64 v[62:63], v[146:147], s[46:47]
	v_add_f64 v[156:157], v[156:157], v[160:161]
	v_add_f64 v[56:57], v[174:175], v[162:163]
	v_fma_f64 v[162:163], v[136:137], s[36:37], v[185:186]
	v_fma_f64 v[160:161], v[136:137], s[46:47], v[185:186]
	v_add_f64 v[164:165], v[168:169], v[164:165]
	v_mul_f64 v[168:169], v[122:123], s[6:7]
	v_add_f64 v[170:171], v[170:171], v[178:179]
	v_mul_f64 v[185:186], v[124:125], s[36:37]
	v_fma_f64 v[178:179], v[108:109], s[4:5], v[172:173]
	v_add_f64 v[158:159], v[187:188], v[158:159]
	v_mul_f64 v[187:188], v[98:99], s[52:53]
	v_fma_f64 v[172:173], v[108:109], s[4:5], -v[172:173]
	v_add_f64 v[60:61], v[183:184], v[60:61]
	v_fma_f64 v[174:175], v[126:127], s[38:39], v[62:63]
	v_mul_f64 v[183:184], v[142:143], s[38:39]
	v_fma_f64 v[50:51], v[126:127], s[38:39], -v[62:63]
	v_add_f64 v[56:57], v[180:181], v[56:57]
	v_add_f64 v[162:163], v[22:23], v[162:163]
	;; [unrolled: 1-line block ×4, first 2 shown]
	v_fma_f64 v[166:167], v[94:95], s[4:5], v[168:169]
	v_add_f64 v[170:171], v[189:190], v[170:171]
	v_mul_f64 v[189:190], v[150:151], s[26:27]
	v_fma_f64 v[62:63], v[90:91], s[28:29], v[52:53]
	v_add_f64 v[158:159], v[193:194], v[158:159]
	v_add_f64 v[156:157], v[191:192], v[156:157]
	v_mul_f64 v[191:192], v[146:147], s[42:43]
	v_fma_f64 v[52:53], v[90:91], s[52:53], v[52:53]
	v_fma_f64 v[193:194], v[120:121], s[38:39], v[185:186]
	v_fma_f64 v[168:169], v[94:95], s[4:5], -v[168:169]
	v_fma_f64 v[185:186], v[120:121], s[38:39], -v[185:186]
	v_add_f64 v[60:61], v[178:179], v[60:61]
	v_add_f64 v[174:175], v[20:21], v[174:175]
	v_fma_f64 v[180:181], v[104:105], s[46:47], v[183:184]
	v_mul_f64 v[178:179], v[138:139], s[12:13]
	v_fma_f64 v[183:184], v[104:105], s[36:37], v[183:184]
	v_add_f64 v[54:55], v[54:55], v[162:163]
	v_mul_f64 v[162:163], v[128:129], s[12:13]
	v_add_f64 v[44:45], v[176:177], v[56:57]
	v_mul_f64 v[56:57], v[144:145], s[20:21]
	v_add_f64 v[58:59], v[58:59], v[160:161]
	v_fma_f64 v[176:177], v[136:137], s[22:23], v[189:190]
	v_mul_f64 v[160:161], v[132:133], s[48:49]
	v_add_f64 v[50:51], v[20:21], v[50:51]
	v_add_f64 v[158:159], v[172:173], v[158:159]
	v_mul_f64 v[172:173], v[122:123], s[18:19]
	v_fma_f64 v[189:190], v[136:137], s[42:43], v[189:190]
	v_add_f64 v[32:33], v[154:155], v[156:157]
	v_mul_f64 v[154:155], v[144:145], s[38:39]
	v_mul_f64 v[144:145], v[144:145], s[30:31]
	v_add_f64 v[60:61], v[193:194], v[60:61]
	v_add_f64 v[166:167], v[166:167], v[174:175]
	v_fma_f64 v[174:175], v[100:101], s[34:35], v[187:188]
	v_add_f64 v[164:165], v[180:181], v[164:165]
	v_fma_f64 v[180:181], v[110:111], s[10:11], v[178:179]
	v_add_f64 v[170:171], v[183:184], v[170:171]
	v_add_f64 v[54:55], v[62:63], v[54:55]
	v_fma_f64 v[62:63], v[92:93], s[48:49], v[162:163]
	v_fma_f64 v[183:184], v[126:127], s[26:27], v[191:192]
	;; [unrolled: 1-line block ×3, first 2 shown]
	v_add_f64 v[176:177], v[22:23], v[176:177]
	v_add_f64 v[52:53], v[52:53], v[58:59]
	v_mul_f64 v[58:59], v[148:149], s[4:5]
	v_mul_f64 v[193:194], v[134:135], s[26:27]
	v_fma_f64 v[162:163], v[92:93], s[10:11], v[162:163]
	v_add_f64 v[50:51], v[168:169], v[50:51]
	v_fma_f64 v[168:169], v[100:101], s[34:35], -v[187:188]
	v_mul_f64 v[187:188], v[112:113], s[42:43]
	v_fma_f64 v[56:57], v[88:89], s[18:19], v[56:57]
	v_add_f64 v[158:159], v[185:186], v[158:159]
	v_mul_f64 v[185:186], v[134:135], s[30:31]
	v_fma_f64 v[178:179], v[110:111], s[48:49], v[178:179]
	v_add_f64 v[166:167], v[174:175], v[166:167]
	v_fma_f64 v[174:175], v[106:107], s[12:13], v[195:196]
	v_add_f64 v[40:41], v[180:181], v[164:165]
	v_fma_f64 v[164:165], v[116:117], s[12:13], v[160:161]
	v_fma_f64 v[160:161], v[116:117], s[12:13], -v[160:161]
	v_add_f64 v[54:55], v[62:63], v[54:55]
	v_add_f64 v[180:181], v[20:21], v[183:184]
	;; [unrolled: 1-line block ×4, first 2 shown]
	v_fma_f64 v[46:47], v[90:91], s[6:7], v[58:59]
	v_fma_f64 v[176:177], v[96:97], s[22:23], v[193:194]
	v_add_f64 v[52:53], v[162:163], v[52:53]
	v_fma_f64 v[189:190], v[96:97], s[42:43], v[193:194]
	v_add_f64 v[50:51], v[168:169], v[50:51]
	v_fma_f64 v[162:163], v[108:109], s[26:27], v[187:188]
	v_mul_f64 v[168:169], v[142:143], s[16:17]
	v_fma_f64 v[193:194], v[106:107], s[12:13], -v[195:196]
	v_fma_f64 v[58:59], v[90:91], s[50:51], v[58:59]
	v_fma_f64 v[187:188], v[108:109], s[26:27], -v[187:188]
	v_add_f64 v[170:171], v[178:179], v[170:171]
	v_add_f64 v[62:63], v[174:175], v[166:167]
	v_mul_f64 v[166:167], v[98:99], s[50:51]
	v_fma_f64 v[174:175], v[94:95], s[20:21], v[172:173]
	v_add_f64 v[60:61], v[164:165], v[60:61]
	v_mul_f64 v[164:165], v[124:125], s[14:15]
	v_add_f64 v[158:159], v[160:161], v[158:159]
	v_add_f64 v[56:57], v[56:57], v[183:184]
	v_mul_f64 v[183:184], v[102:103], s[52:53]
	v_mul_f64 v[160:161], v[142:143], s[12:13]
	v_add_f64 v[46:47], v[46:47], v[48:49]
	v_fma_f64 v[48:49], v[92:93], s[28:29], v[42:43]
	v_add_f64 v[54:55], v[176:177], v[54:55]
	v_fma_f64 v[176:177], v[126:127], s[26:27], -v[191:192]
	v_add_f64 v[52:53], v[189:190], v[52:53]
	v_mul_f64 v[189:190], v[138:139], s[20:21]
	v_fma_f64 v[42:43], v[92:93], s[52:53], v[42:43]
	v_add_f64 v[50:51], v[193:194], v[50:51]
	v_mul_f64 v[193:194], v[132:133], s[44:45]
	v_fma_f64 v[172:173], v[94:95], s[20:21], -v[172:173]
	v_mul_f64 v[98:99], v[98:99], s[42:43]
	v_add_f64 v[62:63], v[162:163], v[62:63]
	v_fma_f64 v[162:163], v[104:105], s[40:41], v[168:169]
	v_add_f64 v[174:175], v[174:175], v[180:181]
	v_fma_f64 v[180:181], v[100:101], s[4:5], v[166:167]
	v_fma_f64 v[191:192], v[120:121], s[16:17], v[164:165]
	;; [unrolled: 1-line block ×3, first 2 shown]
	v_add_f64 v[56:57], v[58:59], v[56:57]
	v_mul_f64 v[58:59], v[112:113], s[24:25]
	v_fma_f64 v[164:165], v[120:121], s[16:17], -v[164:165]
	v_fma_f64 v[166:167], v[100:101], s[4:5], -v[166:167]
	v_add_f64 v[46:47], v[48:49], v[46:47]
	v_fma_f64 v[48:49], v[96:97], s[54:55], v[185:186]
	v_add_f64 v[176:177], v[20:21], v[176:177]
	v_fma_f64 v[178:179], v[110:111], s[44:45], v[189:190]
	v_add_f64 v[50:51], v[187:188], v[50:51]
	v_add_f64 v[54:55], v[162:163], v[54:55]
	v_fma_f64 v[162:163], v[110:111], s[18:19], v[189:190]
	v_add_f64 v[174:175], v[180:181], v[174:175]
	v_fma_f64 v[180:181], v[106:107], s[34:35], v[183:184]
	v_add_f64 v[62:63], v[191:192], v[62:63]
	v_add_f64 v[52:53], v[168:169], v[52:53]
	v_fma_f64 v[168:169], v[116:117], s[20:21], v[193:194]
	v_fma_f64 v[187:188], v[108:109], s[30:31], v[58:59]
	v_mul_f64 v[189:190], v[124:125], s[48:49]
	v_add_f64 v[42:43], v[42:43], v[56:57]
	v_fma_f64 v[56:57], v[96:97], s[24:25], v[185:186]
	v_add_f64 v[38:39], v[48:49], v[46:47]
	v_fma_f64 v[46:47], v[104:105], s[10:11], v[160:161]
	v_mul_f64 v[48:49], v[150:151], s[12:13]
	v_add_f64 v[172:173], v[172:173], v[176:177]
	v_mul_f64 v[176:177], v[140:141], s[20:21]
	v_fma_f64 v[160:161], v[104:105], s[48:49], v[160:161]
	v_add_f64 v[50:51], v[164:165], v[50:51]
	v_fma_f64 v[58:59], v[108:109], s[30:31], -v[58:59]
	v_add_f64 v[54:55], v[162:163], v[54:55]
	v_add_f64 v[174:175], v[180:181], v[174:175]
	v_mul_f64 v[180:181], v[150:151], s[30:31]
	v_mul_f64 v[150:151], v[146:147], s[54:55]
	;; [unrolled: 1-line block ×3, first 2 shown]
	v_add_f64 v[62:63], v[168:169], v[62:63]
	v_fma_f64 v[168:169], v[120:121], s[12:13], v[189:190]
	v_add_f64 v[52:53], v[178:179], v[52:53]
	v_add_f64 v[42:43], v[56:57], v[42:43]
	v_fma_f64 v[178:179], v[106:107], s[34:35], -v[183:184]
	v_add_f64 v[38:39], v[46:47], v[38:39]
	v_fma_f64 v[46:47], v[136:137], s[10:11], v[48:49]
	v_fma_f64 v[48:49], v[136:137], s[48:49], v[48:49]
	;; [unrolled: 1-line block ×3, first 2 shown]
	v_add_f64 v[166:167], v[166:167], v[172:173]
	v_mul_f64 v[172:173], v[140:141], s[30:31]
	v_mul_f64 v[56:57], v[130:131], s[18:19]
	v_fma_f64 v[176:177], v[114:115], s[44:45], v[176:177]
	v_add_f64 v[162:163], v[187:188], v[174:175]
	v_fma_f64 v[156:157], v[136:137], s[24:25], v[180:181]
	v_fma_f64 v[174:175], v[136:137], s[54:55], v[180:181]
	;; [unrolled: 1-line block ×3, first 2 shown]
	v_fma_f64 v[150:151], v[126:127], s[30:31], -v[150:151]
	v_fma_f64 v[36:37], v[126:127], s[12:13], v[146:147]
	v_fma_f64 v[126:127], v[126:127], s[12:13], -v[146:147]
	v_mul_f64 v[146:147], v[122:123], s[46:47]
	v_mul_f64 v[122:123], v[122:123], s[54:55]
	v_add_f64 v[42:43], v[160:161], v[42:43]
	v_fma_f64 v[160:161], v[88:89], s[36:37], v[154:155]
	v_fma_f64 v[154:155], v[88:89], s[46:47], v[154:155]
	v_add_f64 v[46:47], v[22:23], v[46:47]
	v_add_f64 v[28:29], v[164:165], v[170:171]
	v_mul_f64 v[180:181], v[130:131], s[24:25]
	v_add_f64 v[166:167], v[178:179], v[166:167]
	v_fma_f64 v[170:171], v[114:115], s[24:25], v[172:173]
	v_fma_f64 v[178:179], v[118:119], s[20:21], v[56:57]
	v_fma_f64 v[56:57], v[118:119], s[20:21], -v[56:57]
	v_add_f64 v[162:163], v[168:169], v[162:163]
	v_mul_f64 v[168:169], v[148:149], s[20:21]
	v_add_f64 v[156:157], v[22:23], v[156:157]
	v_add_f64 v[174:175], v[22:23], v[174:175]
	;; [unrolled: 1-line block ×7, first 2 shown]
	v_fma_f64 v[48:49], v[94:95], s[38:39], -v[146:147]
	v_fma_f64 v[126:127], v[88:89], s[54:55], v[144:145]
	v_mul_f64 v[148:149], v[148:149], s[26:27]
	v_fma_f64 v[34:35], v[94:95], s[30:31], -v[122:123]
	v_fma_f64 v[146:147], v[94:95], s[38:39], v[146:147]
	v_fma_f64 v[88:89], v[88:89], s[24:25], v[144:145]
	;; [unrolled: 1-line block ×3, first 2 shown]
	v_mul_f64 v[122:123], v[138:139], s[38:39]
	v_fma_f64 v[144:145], v[114:115], s[54:55], v[172:173]
	v_add_f64 v[58:59], v[58:59], v[166:167]
	v_fma_f64 v[166:167], v[118:119], s[30:31], v[180:181]
	v_fma_f64 v[172:173], v[118:119], s[30:31], -v[180:181]
	v_fma_f64 v[180:181], v[120:121], s[12:13], -v[189:190]
	v_add_f64 v[8:9], v[170:171], v[52:53]
	v_fma_f64 v[164:165], v[90:91], s[18:19], v[168:169]
	v_add_f64 v[156:157], v[160:161], v[156:157]
	v_fma_f64 v[160:161], v[90:91], s[44:45], v[168:169]
	v_add_f64 v[154:155], v[154:155], v[174:175]
	v_mul_f64 v[168:169], v[128:129], s[4:5]
	v_mul_f64 v[128:129], v[128:129], s[38:39]
	v_fma_f64 v[174:175], v[116:117], s[20:21], -v[193:194]
	v_add_f64 v[48:49], v[48:49], v[150:151]
	v_add_f64 v[22:23], v[126:127], v[22:23]
	v_fma_f64 v[126:127], v[90:91], s[42:43], v[148:149]
	v_fma_f64 v[150:151], v[100:101], s[20:21], -v[30:31]
	v_add_f64 v[20:21], v[34:35], v[20:21]
	v_fma_f64 v[34:35], v[100:101], s[26:27], -v[98:99]
	v_add_f64 v[136:137], v[146:147], v[136:137]
	v_mul_f64 v[146:147], v[102:103], s[46:47]
	v_fma_f64 v[30:31], v[100:101], s[20:21], v[30:31]
	v_mul_f64 v[102:103], v[102:103], s[6:7]
	v_fma_f64 v[90:91], v[90:91], s[22:23], v[148:149]
	v_add_f64 v[46:47], v[88:89], v[46:47]
	v_fma_f64 v[98:99], v[100:101], s[26:27], v[98:99]
	v_add_f64 v[36:37], v[94:95], v[36:37]
	v_mul_f64 v[148:149], v[134:135], s[16:17]
	v_mul_f64 v[134:135], v[134:135], s[34:35]
	v_add_f64 v[156:157], v[160:161], v[156:157]
	v_add_f64 v[154:155], v[164:165], v[154:155]
	v_fma_f64 v[164:165], v[92:93], s[6:7], v[168:169]
	v_fma_f64 v[168:169], v[92:93], s[50:51], v[168:169]
	v_mul_f64 v[88:89], v[132:133], s[46:47]
	v_mul_f64 v[160:161], v[140:141], s[16:17]
	v_fma_f64 v[100:101], v[110:111], s[36:37], v[122:123]
	v_fma_f64 v[122:123], v[110:111], s[46:47], v[122:123]
	v_add_f64 v[22:23], v[126:127], v[22:23]
	v_add_f64 v[48:49], v[150:151], v[48:49]
	v_fma_f64 v[150:151], v[92:93], s[46:47], v[128:129]
	v_mul_f64 v[126:127], v[112:113], s[40:41]
	v_mul_f64 v[112:113], v[112:113], s[28:29]
	v_add_f64 v[20:21], v[34:35], v[20:21]
	v_fma_f64 v[34:35], v[106:107], s[38:39], -v[146:147]
	v_add_f64 v[30:31], v[30:31], v[136:137]
	v_fma_f64 v[136:137], v[106:107], s[4:5], -v[102:103]
	v_fma_f64 v[102:103], v[106:107], s[4:5], v[102:103]
	v_fma_f64 v[92:93], v[92:93], s[36:37], v[128:129]
	v_add_f64 v[46:47], v[90:91], v[46:47]
	v_fma_f64 v[106:107], v[106:107], s[38:39], v[146:147]
	v_add_f64 v[36:37], v[98:99], v[36:37]
	v_mul_f64 v[98:99], v[142:143], s[20:21]
	v_mul_f64 v[90:91], v[124:125], s[52:53]
	v_add_f64 v[154:155], v[164:165], v[154:155]
	v_mul_f64 v[164:165], v[142:143], s[34:35]
	v_fma_f64 v[142:143], v[96:97], s[28:29], v[134:135]
	v_mul_f64 v[124:125], v[124:125], s[18:19]
	v_fma_f64 v[128:129], v[96:97], s[40:41], v[148:149]
	v_fma_f64 v[148:149], v[96:97], s[14:15], v[148:149]
	v_add_f64 v[156:157], v[168:169], v[156:157]
	v_fma_f64 v[96:97], v[96:97], s[52:53], v[134:135]
	v_add_f64 v[22:23], v[150:151], v[22:23]
	v_fma_f64 v[150:151], v[108:109], s[16:17], -v[126:127]
	v_fma_f64 v[126:127], v[108:109], s[16:17], v[126:127]
	v_mul_f64 v[168:169], v[132:133], s[22:23]
	v_add_f64 v[20:21], v[34:35], v[20:21]
	v_fma_f64 v[34:35], v[108:109], s[34:35], -v[112:113]
	v_add_f64 v[48:49], v[136:137], v[48:49]
	v_add_f64 v[30:31], v[102:103], v[30:31]
	v_mul_f64 v[136:137], v[138:139], s[26:27]
	v_add_f64 v[46:47], v[92:93], v[46:47]
	v_fma_f64 v[92:93], v[108:109], s[34:35], v[112:113]
	v_add_f64 v[36:37], v[106:107], v[36:37]
	v_mul_f64 v[138:139], v[138:139], s[16:17]
	v_fma_f64 v[108:109], v[104:105], s[18:19], v[98:99]
	v_mul_f64 v[106:107], v[132:133], s[14:15]
	v_fma_f64 v[102:103], v[104:105], s[52:53], v[164:165]
	v_fma_f64 v[98:99], v[104:105], s[44:45], v[98:99]
	v_fma_f64 v[112:113], v[120:121], s[20:21], -v[124:125]
	v_add_f64 v[128:129], v[128:129], v[154:155]
	v_fma_f64 v[154:155], v[120:121], s[34:35], -v[90:91]
	v_fma_f64 v[90:91], v[120:121], s[34:35], v[90:91]
	v_mul_f64 v[134:135], v[140:141], s[4:5]
	v_add_f64 v[22:23], v[142:143], v[22:23]
	v_mul_f64 v[132:133], v[130:131], s[10:11]
	v_mul_f64 v[94:95], v[130:131], s[14:15]
	v_fma_f64 v[146:147], v[116:117], s[38:39], v[88:89]
	v_fma_f64 v[88:89], v[116:117], s[38:39], -v[88:89]
	v_add_f64 v[20:21], v[34:35], v[20:21]
	v_add_f64 v[24:25], v[150:151], v[48:49]
	v_fma_f64 v[34:35], v[104:105], s[28:29], v[164:165]
	v_add_f64 v[48:49], v[148:149], v[156:157]
	v_add_f64 v[30:31], v[126:127], v[30:31]
	;; [unrolled: 1-line block ×3, first 2 shown]
	v_fma_f64 v[96:97], v[120:121], s[20:21], v[124:125]
	v_add_f64 v[36:37], v[92:93], v[36:37]
	v_fma_f64 v[104:105], v[110:111], s[14:15], v[138:139]
	v_mul_f64 v[92:93], v[130:131], s[6:7]
	v_fma_f64 v[126:127], v[110:111], s[22:23], v[136:137]
	v_add_f64 v[42:43], v[122:123], v[42:43]
	v_add_f64 v[50:51], v[174:175], v[50:51]
	;; [unrolled: 1-line block ×3, first 2 shown]
	v_fma_f64 v[128:129], v[116:117], s[26:27], -v[168:169]
	v_fma_f64 v[120:121], v[114:115], s[40:41], v[160:161]
	v_add_f64 v[100:101], v[100:101], v[38:39]
	v_add_f64 v[22:23], v[108:109], v[22:23]
	v_fma_f64 v[108:109], v[116:117], s[16:17], -v[106:107]
	v_fma_f64 v[124:125], v[114:115], s[48:49], v[26:27]
	v_add_f64 v[122:123], v[146:147], v[162:163]
	v_add_f64 v[38:39], v[166:167], v[62:63]
	;; [unrolled: 1-line block ×5, first 2 shown]
	v_fma_f64 v[112:113], v[110:111], s[42:43], v[136:137]
	v_add_f64 v[34:35], v[34:35], v[48:49]
	v_fma_f64 v[48:49], v[116:117], s[26:27], v[168:169]
	v_add_f64 v[30:31], v[90:91], v[30:31]
	;; [unrolled: 2-line block ×4, first 2 shown]
	v_fma_f64 v[24:25], v[114:115], s[14:15], v[160:161]
	v_fma_f64 v[106:107], v[114:115], s[6:7], v[134:135]
	;; [unrolled: 1-line block ×3, first 2 shown]
	v_add_f64 v[102:103], v[126:127], v[102:103]
	v_fma_f64 v[96:97], v[118:119], s[12:13], -v[132:133]
	v_fma_f64 v[58:59], v[118:119], s[16:17], -v[94:95]
	v_add_f64 v[22:23], v[104:105], v[22:23]
	v_fma_f64 v[104:105], v[118:119], s[4:5], -v[92:93]
	v_fma_f64 v[94:95], v[118:119], s[16:17], v[94:95]
	v_fma_f64 v[126:127], v[118:119], s[12:13], v[132:133]
	;; [unrolled: 1-line block ×3, first 2 shown]
	v_add_f64 v[108:109], v[108:109], v[16:17]
	v_add_f64 v[116:117], v[128:129], v[18:19]
	;; [unrolled: 1-line block ×3, first 2 shown]
	v_fma_f64 v[92:93], v[118:119], s[4:5], v[92:93]
	v_add_f64 v[112:113], v[112:113], v[34:35]
	v_add_f64 v[26:27], v[56:57], v[158:159]
	;; [unrolled: 1-line block ×17, first 2 shown]
	v_mad_u32_u24 v4, 0x110, v80, 0
	v_add_f64 v[18:19], v[104:105], v[108:109]
	v_add_f64 v[14:15], v[96:97], v[116:117]
	;; [unrolled: 1-line block ×7, first 2 shown]
	ds_write_b128 v4, v[22:25]
	ds_write_b128 v4, v[18:21] offset:16
	ds_write_b128 v4, v[14:17] offset:32
	;; [unrolled: 1-line block ×16, first 2 shown]
.LBB0_21:
	s_or_b32 exec_lo, exec_lo, s33
	v_and_b32_e32 v4, 0xff, v80
	v_mov_b32_e32 v5, 7
	s_waitcnt lgkmcnt(0)
	s_barrier
	buffer_gl0_inv
	v_mul_lo_u16 v4, 0xf1, v4
	s_mov_b32 s6, 0x8c811c17
	s_mov_b32 s10, 0xa2cf5039
	;; [unrolled: 1-line block ×4, first 2 shown]
	v_lshrrev_b16 v81, 12, v4
	s_mov_b32 s7, 0x3fef838b
	s_mov_b32 s11, 0x3fe8836f
	;; [unrolled: 1-line block ×4, first 2 shown]
	v_mul_lo_u16 v4, v81, 17
	v_sub_nc_u16 v96, v80, v4
	v_lshlrev_b32_sdwa v32, v5, v96 dst_sel:DWORD dst_unused:UNUSED_PAD src0_sel:DWORD src1_sel:BYTE_0
	s_clause 0x7
	global_load_dwordx4 v[4:7], v32, s[8:9]
	global_load_dwordx4 v[8:11], v32, s[8:9] offset:112
	global_load_dwordx4 v[12:15], v32, s[8:9] offset:48
	;; [unrolled: 1-line block ×7, first 2 shown]
	ds_read_b128 v[36:39], v182 offset:1632
	ds_read_b128 v[40:43], v182 offset:13056
	ds_read_b128 v[44:47], v182 offset:6528
	ds_read_b128 v[48:51], v182 offset:8160
	ds_read_b128 v[52:55], v182 offset:3264
	ds_read_b128 v[56:59], v182 offset:11424
	ds_read_b128 v[60:63], v182 offset:4896
	ds_read_b128 v[64:67], v182 offset:9792
	s_waitcnt vmcnt(7) lgkmcnt(7)
	v_mul_f64 v[68:69], v[38:39], v[6:7]
	v_mul_f64 v[6:7], v[36:37], v[6:7]
	s_waitcnt vmcnt(6) lgkmcnt(6)
	v_mul_f64 v[70:71], v[42:43], v[10:11]
	v_mul_f64 v[10:11], v[40:41], v[10:11]
	;; [unrolled: 3-line block ×6, first 2 shown]
	v_fma_f64 v[36:37], v[36:37], v[4:5], -v[68:69]
	v_fma_f64 v[38:39], v[38:39], v[4:5], v[6:7]
	ds_read_b128 v[4:7], v182
	v_fma_f64 v[40:41], v[40:41], v[8:9], -v[70:71]
	v_fma_f64 v[8:9], v[42:43], v[8:9], v[10:11]
	v_fma_f64 v[10:11], v[44:45], v[12:13], -v[72:73]
	v_fma_f64 v[12:13], v[46:47], v[12:13], v[14:15]
	;; [unrolled: 2-line block ×5, first 2 shown]
	s_waitcnt vmcnt(1) lgkmcnt(2)
	v_mul_f64 v[26:27], v[62:63], v[30:31]
	v_mul_f64 v[30:31], v[60:61], v[30:31]
	s_waitcnt vmcnt(0) lgkmcnt(1)
	v_mul_f64 v[42:43], v[66:67], v[34:35]
	v_mul_f64 v[34:35], v[64:65], v[34:35]
	s_waitcnt lgkmcnt(0)
	s_barrier
	buffer_gl0_inv
	v_add_f64 v[44:45], v[36:37], -v[40:41]
	v_add_f64 v[46:47], v[38:39], -v[8:9]
	v_add_f64 v[36:37], v[36:37], v[40:41]
	v_add_f64 v[8:9], v[38:39], v[8:9]
	;; [unrolled: 1-line block ×4, first 2 shown]
	v_add_f64 v[48:49], v[10:11], -v[14:15]
	v_add_f64 v[50:51], v[12:13], -v[16:17]
	v_add_f64 v[52:53], v[18:19], v[22:23]
	v_add_f64 v[54:55], v[20:21], v[24:25]
	v_fma_f64 v[26:27], v[60:61], v[28:29], -v[26:27]
	v_fma_f64 v[28:29], v[62:63], v[28:29], v[30:31]
	v_fma_f64 v[30:31], v[64:65], v[32:33], -v[42:43]
	v_fma_f64 v[32:33], v[66:67], v[32:33], v[34:35]
	v_add_f64 v[18:19], v[18:19], -v[22:23]
	v_add_f64 v[20:21], v[20:21], -v[24:25]
	v_mul_f64 v[22:23], v[44:45], s[4:5]
	v_mul_f64 v[24:25], v[46:47], s[4:5]
	v_fma_f64 v[34:35], v[36:37], s[10:11], v[4:5]
	v_fma_f64 v[42:43], v[8:9], s[10:11], v[6:7]
	s_mov_b32 s5, 0xbfe491b7
	v_fma_f64 v[56:57], v[38:39], s[10:11], v[4:5]
	v_fma_f64 v[58:59], v[40:41], s[10:11], v[6:7]
	v_mul_f64 v[60:61], v[48:49], s[6:7]
	v_mul_f64 v[62:63], v[50:51], s[6:7]
	v_fma_f64 v[64:65], v[52:53], s[10:11], v[4:5]
	v_fma_f64 v[66:67], v[54:55], s[10:11], v[6:7]
	v_mul_f64 v[68:69], v[50:51], s[4:5]
	v_mul_f64 v[70:71], v[48:49], s[4:5]
	v_add_f64 v[72:73], v[26:27], v[30:31]
	v_add_f64 v[74:75], v[28:29], v[32:33]
	;; [unrolled: 1-line block ×4, first 2 shown]
	v_add_f64 v[26:27], v[26:27], -v[30:31]
	v_add_f64 v[28:29], v[28:29], -v[32:33]
	s_mov_b32 s10, 0xe8584cab
	s_mov_b32 s11, 0x3febb67a
	v_fma_f64 v[22:23], v[18:19], s[6:7], v[22:23]
	v_fma_f64 v[24:25], v[20:21], s[6:7], v[24:25]
	;; [unrolled: 1-line block ×6, first 2 shown]
	v_fma_f64 v[56:57], v[18:19], s[4:5], -v[60:61]
	v_fma_f64 v[58:59], v[20:21], s[4:5], -v[62:63]
	v_fma_f64 v[60:61], v[38:39], s[12:13], v[64:65]
	v_fma_f64 v[62:63], v[40:41], s[12:13], v[66:67]
	;; [unrolled: 1-line block ×4, first 2 shown]
	v_add_f64 v[68:69], v[48:49], v[44:45]
	v_add_f64 v[70:71], v[50:51], v[46:47]
	;; [unrolled: 1-line block ×8, first 2 shown]
	s_mov_b32 s5, 0xbfebb67a
	s_mov_b32 s4, s10
	v_fma_f64 v[22:23], v[26:27], s[10:11], v[22:23]
	v_fma_f64 v[24:25], v[28:29], s[10:11], v[24:25]
	v_fma_f64 v[30:31], v[72:73], -0.5, v[30:31]
	v_fma_f64 v[32:33], v[74:75], -0.5, v[32:33]
	;; [unrolled: 1-line block ×4, first 2 shown]
	v_fma_f64 v[56:57], v[26:27], s[10:11], v[56:57]
	v_fma_f64 v[58:59], v[28:29], s[10:11], v[58:59]
	v_fma_f64 v[60:61], v[72:73], -0.5, v[60:61]
	v_fma_f64 v[62:63], v[74:75], -0.5, v[62:63]
	v_fma_f64 v[28:29], v[28:29], s[4:5], v[64:65]
	v_fma_f64 v[26:27], v[26:27], s[4:5], v[66:67]
	v_add_f64 v[64:65], v[68:69], -v[18:19]
	v_add_f64 v[66:67], v[70:71], -v[20:21]
	s_mov_b32 s6, 0x748a0bf8
	v_fma_f64 v[68:69], v[92:93], -0.5, v[88:89]
	s_mov_b32 s12, 0x42522d1b
	v_add_f64 v[10:11], v[10:11], v[76:77]
	v_add_f64 v[12:13], v[12:13], v[78:79]
	s_mov_b32 s7, 0x3fd5e3a8
	s_mov_b32 s13, 0xbfee11f6
	v_fma_f64 v[70:71], v[94:95], -0.5, v[90:91]
	v_fma_f64 v[48:49], v[48:49], s[6:7], v[22:23]
	v_fma_f64 v[50:51], v[50:51], s[6:7], v[24:25]
	;; [unrolled: 1-line block ×12, first 2 shown]
	v_mul_f64 v[26:27], v[64:65], s[10:11]
	v_mul_f64 v[28:29], v[66:67], s[10:11]
	v_mov_b32_e32 v43, 4
	v_fma_f64 v[8:9], v[66:67], s[10:11], v[68:69]
	v_add_f64 v[52:53], v[14:15], v[10:11]
	v_add_f64 v[54:55], v[16:17], v[12:13]
	v_fma_f64 v[10:11], v[64:65], s[4:5], v[70:71]
	v_add_f64 v[12:13], v[50:51], v[22:23]
	v_add_f64 v[14:15], v[24:25], -v[48:49]
	v_add_f64 v[16:17], v[38:39], v[36:37]
	v_add_f64 v[18:19], v[40:41], -v[34:35]
	;; [unrolled: 2-line block ×3, first 2 shown]
	v_mov_b32_e32 v40, 0x990
	v_lshlrev_b32_sdwa v41, v43, v96 dst_sel:DWORD dst_unused:UNUSED_PAD src0_sel:DWORD src1_sel:BYTE_0
	v_fma_f64 v[24:25], v[28:29], -2.0, v[8:9]
	v_add_f64 v[28:29], v[4:5], v[52:53]
	v_add_f64 v[30:31], v[6:7], v[54:55]
	v_mul_u32_u24_sdwa v40, v81, v40 dst_sel:DWORD dst_unused:UNUSED_PAD src0_sel:WORD_0 src1_sel:DWORD
	v_fma_f64 v[26:27], v[26:27], 2.0, v[10:11]
	v_fma_f64 v[4:5], v[50:51], -2.0, v[12:13]
	v_fma_f64 v[6:7], v[48:49], 2.0, v[14:15]
	v_add3_u32 v40, 0, v40, v41
	v_fma_f64 v[32:33], v[38:39], -2.0, v[16:17]
	v_fma_f64 v[34:35], v[34:35], 2.0, v[18:19]
	v_fma_f64 v[36:37], v[44:45], -2.0, v[20:21]
	v_fma_f64 v[38:39], v[46:47], 2.0, v[22:23]
	ds_write_b128 v40, v[8:11] offset:816
	ds_write_b128 v40, v[28:31]
	ds_write_b128 v40, v[12:15] offset:272
	ds_write_b128 v40, v[16:19] offset:1088
	;; [unrolled: 1-line block ×7, first 2 shown]
	s_waitcnt lgkmcnt(0)
	s_barrier
	buffer_gl0_inv
	ds_read_b128 v[16:19], v182
	ds_read_b128 v[12:15], v182 offset:1632
	ds_read_b128 v[28:31], v182 offset:7344
	;; [unrolled: 1-line block ×7, first 2 shown]
	s_and_saveexec_b32 s1, s0
	s_cbranch_execz .LBB0_23
; %bb.22:
	ds_read_b128 v[4:7], v182 offset:6528
	ds_read_b128 v[0:3], v182 offset:13872
.LBB0_23:
	s_or_b32 exec_lo, exec_lo, s1
	v_add_nc_u32_e32 v51, 0x132, v80
	v_mov_b32_e32 v44, 0x358b
	v_add_nc_u32_e32 v42, 0x66, v80
	v_subrev_nc_u32_e32 v40, 51, v80
	v_mov_b32_e32 v41, 0
	v_add_co_u32 v45, s1, s8, v84
	v_mul_u32_u24_sdwa v47, v51, v44 dst_sel:DWORD dst_unused:UNUSED_PAD src0_sel:WORD_0 src1_sel:DWORD
	v_cndmask_b32_e64 v40, v40, v42, s0
	v_add_co_ci_u32_e64 v46, s1, s9, v85, s1
	v_add_co_u32 v45, s1, 0x800, v45
	v_lshrrev_b32_e32 v52, 21, v47
	v_lshlrev_b64 v[49:50], 4, v[40:41]
	v_add_co_ci_u32_e64 v46, s1, 0, v46, s1
	v_lshlrev_b32_e32 v40, 4, v40
	v_mul_lo_u16 v52, 0x99, v52
	v_add_co_u32 v49, s1, s8, v49
	v_add_co_ci_u32_e64 v50, s1, s9, v50, s1
	v_sub_nc_u16 v51, v51, v52
	v_add_co_u32 v53, s1, 0x800, v49
	v_add_co_ci_u32_e64 v54, s1, 0, v50, s1
	v_lshlrev_b32_sdwa v43, v43, v51 dst_sel:DWORD dst_unused:UNUSED_PAD src0_sel:DWORD src1_sel:WORD_0
	v_add_co_u32 v49, s1, s8, v86
	v_add_co_ci_u32_e64 v50, s1, s9, v87, s1
	v_add_co_u32 v51, s1, s8, v43
	v_add_co_ci_u32_e64 v52, null, s9, 0, s1
	v_add_co_u32 v49, s1, 0x800, v49
	v_add_co_ci_u32_e64 v50, s1, 0, v50, s1
	v_add_co_u32 v57, s1, 0x800, v51
	global_load_dwordx4 v[45:48], v[45:46], off offset:128
	v_add_co_ci_u32_e64 v58, s1, 0, v52, s1
	s_clause 0x2
	global_load_dwordx4 v[49:52], v[49:50], off offset:944
	global_load_dwordx4 v[53:56], v[53:54], off offset:128
	;; [unrolled: 1-line block ×3, first 2 shown]
	v_cmp_lt_u32_e64 s1, 50, v80
	v_add_nc_u32_e32 v43, 0, v43
	s_waitcnt vmcnt(0) lgkmcnt(0)
	s_barrier
	buffer_gl0_inv
	v_mul_f64 v[61:62], v[30:31], v[47:48]
	v_mul_f64 v[47:48], v[28:29], v[47:48]
	;; [unrolled: 1-line block ×8, first 2 shown]
	v_fma_f64 v[28:29], v[28:29], v[45:46], -v[61:62]
	v_fma_f64 v[30:31], v[30:31], v[45:46], v[47:48]
	v_fma_f64 v[36:37], v[36:37], v[49:50], -v[63:64]
	v_fma_f64 v[45:46], v[24:25], v[53:54], -v[65:66]
	v_fma_f64 v[47:48], v[26:27], v[53:54], v[55:56]
	v_fma_f64 v[38:39], v[38:39], v[49:50], v[51:52]
	v_fma_f64 v[49:50], v[32:33], v[57:58], -v[67:68]
	v_fma_f64 v[51:52], v[34:35], v[57:58], v[59:60]
	v_add_f64 v[24:25], v[16:17], -v[28:29]
	v_add_f64 v[26:27], v[18:19], -v[30:31]
	;; [unrolled: 1-line block ×8, first 2 shown]
	v_cndmask_b32_e64 v45, 0, 0x1320, s1
	v_add3_u32 v40, 0, v45, v40
	v_fma_f64 v[16:17], v[16:17], 2.0, -v[24:25]
	v_fma_f64 v[18:19], v[18:19], 2.0, -v[26:27]
	v_fma_f64 v[20:21], v[20:21], 2.0, -v[28:29]
	v_fma_f64 v[12:13], v[12:13], 2.0, -v[32:33]
	v_fma_f64 v[14:15], v[14:15], 2.0, -v[34:35]
	v_fma_f64 v[22:23], v[22:23], 2.0, -v[30:31]
	v_fma_f64 v[8:9], v[8:9], 2.0, -v[36:37]
	v_fma_f64 v[10:11], v[10:11], 2.0, -v[38:39]
	ds_write_b128 v182, v[24:27] offset:2448
	ds_write_b128 v182, v[16:19]
	ds_write_b128 v40, v[32:35] offset:2448
	ds_write_b128 v40, v[12:15]
	ds_write_b128 v182, v[20:23] offset:5712
	ds_write_b128 v182, v[28:31] offset:8160
	;; [unrolled: 1-line block ×4, first 2 shown]
	s_and_saveexec_b32 s1, s0
	s_cbranch_execz .LBB0_25
; %bb.24:
	v_add_nc_u32_e32 v8, 0x198, v80
	v_mov_b32_e32 v10, 4
	v_mul_u32_u24_sdwa v9, v8, v44 dst_sel:DWORD dst_unused:UNUSED_PAD src0_sel:WORD_0 src1_sel:DWORD
	v_lshrrev_b32_e32 v9, 21, v9
	v_mul_lo_u16 v9, 0x99, v9
	v_sub_nc_u16 v8, v8, v9
	v_lshlrev_b32_sdwa v14, v10, v8 dst_sel:DWORD dst_unused:UNUSED_PAD src0_sel:DWORD src1_sel:WORD_0
	v_add_co_u32 v8, s0, s8, v14
	v_add_co_ci_u32_e64 v9, null, s9, 0, s0
	v_add_co_u32 v8, s0, 0x800, v8
	v_add_co_ci_u32_e64 v9, s0, 0, v9, s0
	global_load_dwordx4 v[8:11], v[8:9], off offset:128
	s_waitcnt vmcnt(0)
	v_mul_f64 v[12:13], v[0:1], v[10:11]
	v_mul_f64 v[10:11], v[2:3], v[10:11]
	v_fma_f64 v[2:3], v[2:3], v[8:9], v[12:13]
	v_fma_f64 v[0:1], v[0:1], v[8:9], -v[10:11]
	v_add_nc_u32_e32 v8, 0, v14
	v_add_f64 v[2:3], v[6:7], -v[2:3]
	v_add_f64 v[0:1], v[4:5], -v[0:1]
	v_fma_f64 v[6:7], v[6:7], 2.0, -v[2:3]
	v_fma_f64 v[4:5], v[4:5], 2.0, -v[0:1]
	ds_write_b128 v8, v[4:7] offset:9792
	ds_write_b128 v8, v[0:3] offset:12240
.LBB0_25:
	s_or_b32 exec_lo, exec_lo, s1
	v_lshlrev_b32_e32 v40, 1, v80
	v_lshlrev_b32_e32 v2, 1, v42
	v_mov_b32_e32 v3, v41
	s_waitcnt lgkmcnt(0)
	s_barrier
	v_lshlrev_b64 v[0:1], 4, v[40:41]
	v_add_nc_u32_e32 v40, 0x198, v40
	v_lshlrev_b64 v[8:9], 4, v[2:3]
	buffer_gl0_inv
	v_add_co_u32 v4, s0, s8, v0
	v_add_co_ci_u32_e64 v5, s0, s9, v1, s0
	v_add_co_u32 v0, s0, 0x1000, v4
	v_add_co_ci_u32_e64 v1, s0, 0, v5, s0
	;; [unrolled: 2-line block ×4, first 2 shown]
	v_lshlrev_b64 v[8:9], 4, v[40:41]
	v_add_co_u32 v12, s0, 0x1210, v10
	v_add_co_ci_u32_e64 v13, s0, 0, v11, s0
	s_clause 0x1
	global_load_dwordx4 v[0:3], v[0:1], off offset:528
	global_load_dwordx4 v[4:7], v[4:5], off offset:16
	v_add_co_u32 v14, s0, s8, v8
	v_add_co_ci_u32_e64 v15, s0, s9, v9, s0
	v_add_co_u32 v8, s0, 0x1000, v10
	v_add_co_ci_u32_e64 v9, s0, 0, v11, s0
	;; [unrolled: 2-line block ×4, first 2 shown]
	s_clause 0x3
	global_load_dwordx4 v[8:11], v[8:9], off offset:528
	global_load_dwordx4 v[12:15], v[12:13], off offset:16
	;; [unrolled: 1-line block ×4, first 2 shown]
	ds_read_b128 v[24:27], v182 offset:4896
	ds_read_b128 v[28:31], v182 offset:9792
	;; [unrolled: 1-line block ×7, first 2 shown]
	s_mov_b32 s0, 0xe8584caa
	s_mov_b32 s1, 0x3febb67a
	;; [unrolled: 1-line block ×3, first 2 shown]
	s_waitcnt vmcnt(5) lgkmcnt(6)
	v_mul_f64 v[52:53], v[26:27], v[2:3]
	s_waitcnt vmcnt(4) lgkmcnt(5)
	v_mul_f64 v[54:55], v[30:31], v[6:7]
	v_mul_f64 v[2:3], v[24:25], v[2:3]
	v_mul_f64 v[6:7], v[28:29], v[6:7]
	s_waitcnt vmcnt(3) lgkmcnt(4)
	v_mul_f64 v[56:57], v[34:35], v[10:11]
	s_waitcnt vmcnt(2) lgkmcnt(3)
	v_mul_f64 v[58:59], v[38:39], v[14:15]
	v_mul_f64 v[10:11], v[32:33], v[10:11]
	v_mul_f64 v[14:15], v[36:37], v[14:15]
	;; [unrolled: 6-line block ×3, first 2 shown]
	v_fma_f64 v[24:25], v[24:25], v[0:1], -v[52:53]
	v_fma_f64 v[28:29], v[28:29], v[4:5], -v[54:55]
	v_fma_f64 v[26:27], v[26:27], v[0:1], v[2:3]
	v_fma_f64 v[30:31], v[30:31], v[4:5], v[6:7]
	ds_read_b128 v[0:3], v182
	ds_read_b128 v[4:7], v182 offset:1632
	s_waitcnt lgkmcnt(0)
	s_barrier
	buffer_gl0_inv
	v_fma_f64 v[32:33], v[32:33], v[8:9], -v[56:57]
	v_fma_f64 v[36:37], v[36:37], v[12:13], -v[58:59]
	v_fma_f64 v[8:9], v[34:35], v[8:9], v[10:11]
	v_fma_f64 v[10:11], v[38:39], v[12:13], v[14:15]
	v_fma_f64 v[12:13], v[40:41], v[16:17], -v[60:61]
	v_fma_f64 v[14:15], v[44:45], v[20:21], -v[62:63]
	v_fma_f64 v[16:17], v[42:43], v[16:17], v[18:19]
	v_fma_f64 v[18:19], v[46:47], v[20:21], v[22:23]
	v_add_f64 v[20:21], v[24:25], v[28:29]
	v_add_f64 v[44:45], v[0:1], v[24:25]
	;; [unrolled: 1-line block ×3, first 2 shown]
	v_add_f64 v[46:47], v[26:27], -v[30:31]
	v_add_f64 v[26:27], v[2:3], v[26:27]
	v_add_f64 v[24:25], v[24:25], -v[28:29]
	v_add_f64 v[52:53], v[4:5], v[32:33]
	v_add_f64 v[34:35], v[32:33], v[36:37]
	;; [unrolled: 1-line block ×8, first 2 shown]
	v_add_f64 v[60:61], v[8:9], -v[10:11]
	v_fma_f64 v[20:21], v[20:21], -0.5, v[0:1]
	v_add_f64 v[32:33], v[32:33], -v[36:37]
	v_fma_f64 v[22:23], v[22:23], -0.5, v[2:3]
	v_add_f64 v[62:63], v[16:17], -v[18:19]
	v_add_f64 v[0:1], v[44:45], v[28:29]
	v_add_f64 v[2:3], v[26:27], v[30:31]
	v_fma_f64 v[34:35], v[34:35], -0.5, v[4:5]
	v_add_f64 v[4:5], v[52:53], v[36:37]
	v_fma_f64 v[38:39], v[38:39], -0.5, v[6:7]
	;; [unrolled: 2-line block ×3, first 2 shown]
	v_add_f64 v[48:49], v[12:13], -v[14:15]
	v_fma_f64 v[42:43], v[42:43], -0.5, v[50:51]
	v_add_f64 v[8:9], v[56:57], v[14:15]
	v_add_f64 v[10:11], v[58:59], v[18:19]
	v_fma_f64 v[12:13], v[46:47], s[0:1], v[20:21]
	v_fma_f64 v[14:15], v[24:25], s[4:5], v[22:23]
	;; [unrolled: 1-line block ×12, first 2 shown]
	ds_write_b128 v182, v[0:3]
	ds_write_b128 v182, v[4:7] offset:1632
	ds_write_b128 v182, v[8:11] offset:3264
	;; [unrolled: 1-line block ×8, first 2 shown]
	s_waitcnt lgkmcnt(0)
	s_barrier
	buffer_gl0_inv
	s_and_saveexec_b32 s0, vcc_lo
	s_cbranch_execz .LBB0_27
; %bb.26:
	v_mov_b32_e32 v81, 0
	v_add_co_u32 v30, vcc_lo, s2, v82
	v_lshl_add_u32 v28, v80, 4, 0
	v_add_co_ci_u32_e32 v31, vcc_lo, s3, v83, vcc_lo
	v_lshlrev_b64 v[0:1], 4, v[80:81]
	v_add_nc_u32_e32 v8, 0x66, v80
	v_mov_b32_e32 v9, v81
	v_add_nc_u32_e32 v10, 0xcc, v80
	v_mov_b32_e32 v11, v81
	v_add_nc_u32_e32 v22, 0x132, v80
	v_add_co_u32 v16, vcc_lo, v30, v0
	v_add_co_ci_u32_e32 v17, vcc_lo, v31, v1, vcc_lo
	ds_read_b128 v[0:3], v28
	ds_read_b128 v[4:7], v28 offset:1632
	v_lshlrev_b64 v[18:19], 4, v[8:9]
	v_lshlrev_b64 v[20:21], 4, v[10:11]
	ds_read_b128 v[8:11], v28 offset:3264
	ds_read_b128 v[12:15], v28 offset:4896
	v_mov_b32_e32 v23, v81
	v_add_nc_u32_e32 v24, 0x198, v80
	v_mov_b32_e32 v25, v81
	v_add_co_u32 v18, vcc_lo, v30, v18
	v_lshlrev_b64 v[22:23], 4, v[22:23]
	v_add_co_ci_u32_e32 v19, vcc_lo, v31, v19, vcc_lo
	v_add_co_u32 v20, vcc_lo, v30, v20
	v_add_co_ci_u32_e32 v21, vcc_lo, v31, v21, vcc_lo
	v_add_co_u32 v22, vcc_lo, v30, v22
	s_waitcnt lgkmcnt(3)
	global_store_dwordx4 v[16:17], v[0:3], off
	s_waitcnt lgkmcnt(2)
	global_store_dwordx4 v[18:19], v[4:7], off
	v_add_nc_u32_e32 v2, 0x1fe, v80
	v_mov_b32_e32 v3, v81
	v_add_co_ci_u32_e32 v23, vcc_lo, v31, v23, vcc_lo
	v_lshlrev_b64 v[0:1], 4, v[24:25]
	s_waitcnt lgkmcnt(1)
	global_store_dwordx4 v[20:21], v[8:11], off
	s_waitcnt lgkmcnt(0)
	global_store_dwordx4 v[22:23], v[12:15], off
	v_lshlrev_b64 v[8:9], 4, v[2:3]
	v_add_nc_u32_e32 v10, 0x264, v80
	v_mov_b32_e32 v11, v81
	v_add_co_u32 v20, vcc_lo, v30, v0
	v_add_co_ci_u32_e32 v21, vcc_lo, v31, v1, vcc_lo
	v_add_co_u32 v22, vcc_lo, v30, v8
	ds_read_b128 v[0:3], v28 offset:6528
	ds_read_b128 v[4:7], v28 offset:8160
	v_add_co_ci_u32_e32 v23, vcc_lo, v31, v9, vcc_lo
	v_lshlrev_b64 v[26:27], 4, v[10:11]
	ds_read_b128 v[8:11], v28 offset:9792
	ds_read_b128 v[12:15], v28 offset:11424
	;; [unrolled: 1-line block ×3, first 2 shown]
	v_add_nc_u32_e32 v24, 0x2ca, v80
	v_add_nc_u32_e32 v80, 0x330, v80
	v_add_co_u32 v26, vcc_lo, v30, v26
	v_lshlrev_b64 v[24:25], 4, v[24:25]
	v_lshlrev_b64 v[28:29], 4, v[80:81]
	v_add_co_ci_u32_e32 v27, vcc_lo, v31, v27, vcc_lo
	v_add_co_u32 v24, vcc_lo, v30, v24
	v_add_co_ci_u32_e32 v25, vcc_lo, v31, v25, vcc_lo
	v_add_co_u32 v28, vcc_lo, v30, v28
	v_add_co_ci_u32_e32 v29, vcc_lo, v31, v29, vcc_lo
	s_waitcnt lgkmcnt(4)
	global_store_dwordx4 v[20:21], v[0:3], off
	s_waitcnt lgkmcnt(3)
	global_store_dwordx4 v[22:23], v[4:7], off
	;; [unrolled: 2-line block ×5, first 2 shown]
.LBB0_27:
	s_endpgm
	.section	.rodata,"a",@progbits
	.p2align	6, 0x0
	.amdhsa_kernel fft_rtc_fwd_len918_factors_17_9_2_3_wgs_102_tpt_102_halfLds_dp_ip_CI_unitstride_sbrr_C2R_dirReg
		.amdhsa_group_segment_fixed_size 0
		.amdhsa_private_segment_fixed_size 0
		.amdhsa_kernarg_size 88
		.amdhsa_user_sgpr_count 6
		.amdhsa_user_sgpr_private_segment_buffer 1
		.amdhsa_user_sgpr_dispatch_ptr 0
		.amdhsa_user_sgpr_queue_ptr 0
		.amdhsa_user_sgpr_kernarg_segment_ptr 1
		.amdhsa_user_sgpr_dispatch_id 0
		.amdhsa_user_sgpr_flat_scratch_init 0
		.amdhsa_user_sgpr_private_segment_size 0
		.amdhsa_wavefront_size32 1
		.amdhsa_uses_dynamic_stack 0
		.amdhsa_system_sgpr_private_segment_wavefront_offset 0
		.amdhsa_system_sgpr_workgroup_id_x 1
		.amdhsa_system_sgpr_workgroup_id_y 0
		.amdhsa_system_sgpr_workgroup_id_z 0
		.amdhsa_system_sgpr_workgroup_info 0
		.amdhsa_system_vgpr_workitem_id 0
		.amdhsa_next_free_vgpr 201
		.amdhsa_next_free_sgpr 56
		.amdhsa_reserve_vcc 1
		.amdhsa_reserve_flat_scratch 0
		.amdhsa_float_round_mode_32 0
		.amdhsa_float_round_mode_16_64 0
		.amdhsa_float_denorm_mode_32 3
		.amdhsa_float_denorm_mode_16_64 3
		.amdhsa_dx10_clamp 1
		.amdhsa_ieee_mode 1
		.amdhsa_fp16_overflow 0
		.amdhsa_workgroup_processor_mode 1
		.amdhsa_memory_ordered 1
		.amdhsa_forward_progress 0
		.amdhsa_shared_vgpr_count 0
		.amdhsa_exception_fp_ieee_invalid_op 0
		.amdhsa_exception_fp_denorm_src 0
		.amdhsa_exception_fp_ieee_div_zero 0
		.amdhsa_exception_fp_ieee_overflow 0
		.amdhsa_exception_fp_ieee_underflow 0
		.amdhsa_exception_fp_ieee_inexact 0
		.amdhsa_exception_int_div_zero 0
	.end_amdhsa_kernel
	.text
.Lfunc_end0:
	.size	fft_rtc_fwd_len918_factors_17_9_2_3_wgs_102_tpt_102_halfLds_dp_ip_CI_unitstride_sbrr_C2R_dirReg, .Lfunc_end0-fft_rtc_fwd_len918_factors_17_9_2_3_wgs_102_tpt_102_halfLds_dp_ip_CI_unitstride_sbrr_C2R_dirReg
                                        ; -- End function
	.section	.AMDGPU.csdata,"",@progbits
; Kernel info:
; codeLenInByte = 13132
; NumSgprs: 58
; NumVgprs: 201
; ScratchSize: 0
; MemoryBound: 0
; FloatMode: 240
; IeeeMode: 1
; LDSByteSize: 0 bytes/workgroup (compile time only)
; SGPRBlocks: 7
; VGPRBlocks: 25
; NumSGPRsForWavesPerEU: 58
; NumVGPRsForWavesPerEU: 201
; Occupancy: 4
; WaveLimiterHint : 1
; COMPUTE_PGM_RSRC2:SCRATCH_EN: 0
; COMPUTE_PGM_RSRC2:USER_SGPR: 6
; COMPUTE_PGM_RSRC2:TRAP_HANDLER: 0
; COMPUTE_PGM_RSRC2:TGID_X_EN: 1
; COMPUTE_PGM_RSRC2:TGID_Y_EN: 0
; COMPUTE_PGM_RSRC2:TGID_Z_EN: 0
; COMPUTE_PGM_RSRC2:TIDIG_COMP_CNT: 0
	.text
	.p2alignl 6, 3214868480
	.fill 48, 4, 3214868480
	.type	__hip_cuid_2520f2220bffd56e,@object ; @__hip_cuid_2520f2220bffd56e
	.section	.bss,"aw",@nobits
	.globl	__hip_cuid_2520f2220bffd56e
__hip_cuid_2520f2220bffd56e:
	.byte	0                               ; 0x0
	.size	__hip_cuid_2520f2220bffd56e, 1

	.ident	"AMD clang version 19.0.0git (https://github.com/RadeonOpenCompute/llvm-project roc-6.4.0 25133 c7fe45cf4b819c5991fe208aaa96edf142730f1d)"
	.section	".note.GNU-stack","",@progbits
	.addrsig
	.addrsig_sym __hip_cuid_2520f2220bffd56e
	.amdgpu_metadata
---
amdhsa.kernels:
  - .args:
      - .actual_access:  read_only
        .address_space:  global
        .offset:         0
        .size:           8
        .value_kind:     global_buffer
      - .offset:         8
        .size:           8
        .value_kind:     by_value
      - .actual_access:  read_only
        .address_space:  global
        .offset:         16
        .size:           8
        .value_kind:     global_buffer
      - .actual_access:  read_only
        .address_space:  global
        .offset:         24
        .size:           8
        .value_kind:     global_buffer
      - .offset:         32
        .size:           8
        .value_kind:     by_value
      - .actual_access:  read_only
        .address_space:  global
        .offset:         40
        .size:           8
        .value_kind:     global_buffer
      - .actual_access:  read_only
        .address_space:  global
        .offset:         48
        .size:           8
        .value_kind:     global_buffer
      - .offset:         56
        .size:           4
        .value_kind:     by_value
      - .actual_access:  read_only
        .address_space:  global
        .offset:         64
        .size:           8
        .value_kind:     global_buffer
      - .actual_access:  read_only
        .address_space:  global
        .offset:         72
        .size:           8
        .value_kind:     global_buffer
      - .address_space:  global
        .offset:         80
        .size:           8
        .value_kind:     global_buffer
    .group_segment_fixed_size: 0
    .kernarg_segment_align: 8
    .kernarg_segment_size: 88
    .language:       OpenCL C
    .language_version:
      - 2
      - 0
    .max_flat_workgroup_size: 102
    .name:           fft_rtc_fwd_len918_factors_17_9_2_3_wgs_102_tpt_102_halfLds_dp_ip_CI_unitstride_sbrr_C2R_dirReg
    .private_segment_fixed_size: 0
    .sgpr_count:     58
    .sgpr_spill_count: 0
    .symbol:         fft_rtc_fwd_len918_factors_17_9_2_3_wgs_102_tpt_102_halfLds_dp_ip_CI_unitstride_sbrr_C2R_dirReg.kd
    .uniform_work_group_size: 1
    .uses_dynamic_stack: false
    .vgpr_count:     201
    .vgpr_spill_count: 0
    .wavefront_size: 32
    .workgroup_processor_mode: 1
amdhsa.target:   amdgcn-amd-amdhsa--gfx1030
amdhsa.version:
  - 1
  - 2
...

	.end_amdgpu_metadata
